;; amdgpu-corpus repo=ROCm/rocFFT kind=compiled arch=gfx1030 opt=O3
	.text
	.amdgcn_target "amdgcn-amd-amdhsa--gfx1030"
	.amdhsa_code_object_version 6
	.protected	fft_rtc_back_len306_factors_17_2_9_wgs_238_tpt_34_halfLds_dp_op_CI_CI_unitstride_sbrr_C2R_dirReg ; -- Begin function fft_rtc_back_len306_factors_17_2_9_wgs_238_tpt_34_halfLds_dp_op_CI_CI_unitstride_sbrr_C2R_dirReg
	.globl	fft_rtc_back_len306_factors_17_2_9_wgs_238_tpt_34_halfLds_dp_op_CI_CI_unitstride_sbrr_C2R_dirReg
	.p2align	8
	.type	fft_rtc_back_len306_factors_17_2_9_wgs_238_tpt_34_halfLds_dp_op_CI_CI_unitstride_sbrr_C2R_dirReg,@function
fft_rtc_back_len306_factors_17_2_9_wgs_238_tpt_34_halfLds_dp_op_CI_CI_unitstride_sbrr_C2R_dirReg: ; @fft_rtc_back_len306_factors_17_2_9_wgs_238_tpt_34_halfLds_dp_op_CI_CI_unitstride_sbrr_C2R_dirReg
; %bb.0:
	s_load_dwordx4 s[12:15], s[4:5], 0x0
	v_mul_u32_u24_e32 v1, 0x788, v0
	s_clause 0x1
	s_load_dwordx4 s[8:11], s[4:5], 0x58
	s_load_dwordx4 s[16:19], s[4:5], 0x18
	v_mov_b32_e32 v5, 0
	v_lshrrev_b32_e32 v3, 16, v1
	v_mov_b32_e32 v1, 0
	v_mov_b32_e32 v2, 0
	v_mad_u64_u32 v[3:4], null, s6, 7, v[3:4]
	v_mov_b32_e32 v4, v5
	v_mov_b32_e32 v77, v2
	;; [unrolled: 1-line block ×5, first 2 shown]
	s_waitcnt lgkmcnt(0)
	v_cmp_lt_u64_e64 s0, s[14:15], 2
	s_and_b32 vcc_lo, exec_lo, s0
	s_cbranch_vccnz .LBB0_8
; %bb.1:
	s_load_dwordx2 s[0:1], s[4:5], 0x10
	v_mov_b32_e32 v1, 0
	v_mov_b32_e32 v2, 0
	s_add_u32 s2, s18, 8
	v_mov_b32_e32 v8, v4
	s_addc_u32 s3, s19, 0
	v_mov_b32_e32 v7, v3
	v_mov_b32_e32 v77, v2
	s_add_u32 s6, s16, 8
	v_mov_b32_e32 v76, v1
	s_addc_u32 s7, s17, 0
	s_mov_b64 s[22:23], 1
	s_waitcnt lgkmcnt(0)
	s_add_u32 s20, s0, 8
	s_addc_u32 s21, s1, 0
.LBB0_2:                                ; =>This Inner Loop Header: Depth=1
	s_load_dwordx2 s[24:25], s[20:21], 0x0
                                        ; implicit-def: $vgpr78_vgpr79
	s_mov_b32 s0, exec_lo
	s_waitcnt lgkmcnt(0)
	v_or_b32_e32 v6, s25, v8
	v_cmpx_ne_u64_e32 0, v[5:6]
	s_xor_b32 s1, exec_lo, s0
	s_cbranch_execz .LBB0_4
; %bb.3:                                ;   in Loop: Header=BB0_2 Depth=1
	v_cvt_f32_u32_e32 v4, s24
	v_cvt_f32_u32_e32 v6, s25
	s_sub_u32 s0, 0, s24
	s_subb_u32 s26, 0, s25
	v_fmac_f32_e32 v4, 0x4f800000, v6
	v_rcp_f32_e32 v4, v4
	v_mul_f32_e32 v4, 0x5f7ffffc, v4
	v_mul_f32_e32 v6, 0x2f800000, v4
	v_trunc_f32_e32 v6, v6
	v_fmac_f32_e32 v4, 0xcf800000, v6
	v_cvt_u32_f32_e32 v6, v6
	v_cvt_u32_f32_e32 v4, v4
	v_mul_lo_u32 v9, s0, v6
	v_mul_hi_u32 v10, s0, v4
	v_mul_lo_u32 v11, s26, v4
	v_add_nc_u32_e32 v9, v10, v9
	v_mul_lo_u32 v10, s0, v4
	v_add_nc_u32_e32 v9, v9, v11
	v_mul_hi_u32 v11, v4, v10
	v_mul_lo_u32 v12, v4, v9
	v_mul_hi_u32 v13, v4, v9
	v_mul_hi_u32 v14, v6, v10
	v_mul_lo_u32 v10, v6, v10
	v_mul_hi_u32 v15, v6, v9
	v_mul_lo_u32 v9, v6, v9
	v_add_co_u32 v11, vcc_lo, v11, v12
	v_add_co_ci_u32_e32 v12, vcc_lo, 0, v13, vcc_lo
	v_add_co_u32 v10, vcc_lo, v11, v10
	v_add_co_ci_u32_e32 v10, vcc_lo, v12, v14, vcc_lo
	v_add_co_ci_u32_e32 v11, vcc_lo, 0, v15, vcc_lo
	v_add_co_u32 v9, vcc_lo, v10, v9
	v_add_co_ci_u32_e32 v10, vcc_lo, 0, v11, vcc_lo
	v_add_co_u32 v4, vcc_lo, v4, v9
	v_add_co_ci_u32_e32 v6, vcc_lo, v6, v10, vcc_lo
	v_mul_hi_u32 v9, s0, v4
	v_mul_lo_u32 v11, s26, v4
	v_mul_lo_u32 v10, s0, v6
	v_add_nc_u32_e32 v9, v9, v10
	v_mul_lo_u32 v10, s0, v4
	v_add_nc_u32_e32 v9, v9, v11
	v_mul_hi_u32 v11, v4, v10
	v_mul_lo_u32 v12, v4, v9
	v_mul_hi_u32 v13, v4, v9
	v_mul_hi_u32 v14, v6, v10
	v_mul_lo_u32 v10, v6, v10
	v_mul_hi_u32 v15, v6, v9
	v_mul_lo_u32 v9, v6, v9
	v_add_co_u32 v11, vcc_lo, v11, v12
	v_add_co_ci_u32_e32 v12, vcc_lo, 0, v13, vcc_lo
	v_add_co_u32 v10, vcc_lo, v11, v10
	v_add_co_ci_u32_e32 v10, vcc_lo, v12, v14, vcc_lo
	v_add_co_ci_u32_e32 v11, vcc_lo, 0, v15, vcc_lo
	v_add_co_u32 v9, vcc_lo, v10, v9
	v_add_co_ci_u32_e32 v10, vcc_lo, 0, v11, vcc_lo
	v_add_co_u32 v4, vcc_lo, v4, v9
	v_add_co_ci_u32_e32 v6, vcc_lo, v6, v10, vcc_lo
	v_mul_hi_u32 v15, v7, v4
	v_mad_u64_u32 v[11:12], null, v8, v4, 0
	v_mad_u64_u32 v[9:10], null, v7, v6, 0
	;; [unrolled: 1-line block ×3, first 2 shown]
	v_add_co_u32 v4, vcc_lo, v15, v9
	v_add_co_ci_u32_e32 v6, vcc_lo, 0, v10, vcc_lo
	v_add_co_u32 v4, vcc_lo, v4, v11
	v_add_co_ci_u32_e32 v4, vcc_lo, v6, v12, vcc_lo
	v_add_co_ci_u32_e32 v6, vcc_lo, 0, v14, vcc_lo
	v_add_co_u32 v4, vcc_lo, v4, v13
	v_add_co_ci_u32_e32 v6, vcc_lo, 0, v6, vcc_lo
	v_mul_lo_u32 v11, s25, v4
	v_mad_u64_u32 v[9:10], null, s24, v4, 0
	v_mul_lo_u32 v12, s24, v6
	v_sub_co_u32 v9, vcc_lo, v7, v9
	v_add3_u32 v10, v10, v12, v11
	v_sub_nc_u32_e32 v11, v8, v10
	v_subrev_co_ci_u32_e64 v11, s0, s25, v11, vcc_lo
	v_add_co_u32 v12, s0, v4, 2
	v_add_co_ci_u32_e64 v13, s0, 0, v6, s0
	v_sub_co_u32 v14, s0, v9, s24
	v_sub_co_ci_u32_e32 v10, vcc_lo, v8, v10, vcc_lo
	v_subrev_co_ci_u32_e64 v11, s0, 0, v11, s0
	v_cmp_le_u32_e32 vcc_lo, s24, v14
	v_cmp_eq_u32_e64 s0, s25, v10
	v_cndmask_b32_e64 v14, 0, -1, vcc_lo
	v_cmp_le_u32_e32 vcc_lo, s25, v11
	v_cndmask_b32_e64 v15, 0, -1, vcc_lo
	v_cmp_le_u32_e32 vcc_lo, s24, v9
	;; [unrolled: 2-line block ×3, first 2 shown]
	v_cndmask_b32_e64 v16, 0, -1, vcc_lo
	v_cmp_eq_u32_e32 vcc_lo, s25, v11
	v_cndmask_b32_e64 v9, v16, v9, s0
	v_cndmask_b32_e32 v11, v15, v14, vcc_lo
	v_add_co_u32 v14, vcc_lo, v4, 1
	v_add_co_ci_u32_e32 v15, vcc_lo, 0, v6, vcc_lo
	v_cmp_ne_u32_e32 vcc_lo, 0, v11
	v_cndmask_b32_e32 v10, v15, v13, vcc_lo
	v_cndmask_b32_e32 v11, v14, v12, vcc_lo
	v_cmp_ne_u32_e32 vcc_lo, 0, v9
	v_cndmask_b32_e32 v79, v6, v10, vcc_lo
	v_cndmask_b32_e32 v78, v4, v11, vcc_lo
.LBB0_4:                                ;   in Loop: Header=BB0_2 Depth=1
	s_andn2_saveexec_b32 s0, s1
	s_cbranch_execz .LBB0_6
; %bb.5:                                ;   in Loop: Header=BB0_2 Depth=1
	v_cvt_f32_u32_e32 v4, s24
	s_sub_i32 s1, 0, s24
	v_mov_b32_e32 v79, v5
	v_rcp_iflag_f32_e32 v4, v4
	v_mul_f32_e32 v4, 0x4f7ffffe, v4
	v_cvt_u32_f32_e32 v4, v4
	v_mul_lo_u32 v6, s1, v4
	v_mul_hi_u32 v6, v4, v6
	v_add_nc_u32_e32 v4, v4, v6
	v_mul_hi_u32 v4, v7, v4
	v_mul_lo_u32 v6, v4, s24
	v_add_nc_u32_e32 v9, 1, v4
	v_sub_nc_u32_e32 v6, v7, v6
	v_subrev_nc_u32_e32 v10, s24, v6
	v_cmp_le_u32_e32 vcc_lo, s24, v6
	v_cndmask_b32_e32 v6, v6, v10, vcc_lo
	v_cndmask_b32_e32 v4, v4, v9, vcc_lo
	v_cmp_le_u32_e32 vcc_lo, s24, v6
	v_add_nc_u32_e32 v9, 1, v4
	v_cndmask_b32_e32 v78, v4, v9, vcc_lo
.LBB0_6:                                ;   in Loop: Header=BB0_2 Depth=1
	s_or_b32 exec_lo, exec_lo, s0
	v_mul_lo_u32 v4, v79, s24
	v_mul_lo_u32 v6, v78, s25
	s_load_dwordx2 s[0:1], s[6:7], 0x0
	v_mad_u64_u32 v[9:10], null, v78, s24, 0
	s_load_dwordx2 s[24:25], s[2:3], 0x0
	s_add_u32 s22, s22, 1
	s_addc_u32 s23, s23, 0
	s_add_u32 s2, s2, 8
	s_addc_u32 s3, s3, 0
	s_add_u32 s6, s6, 8
	v_add3_u32 v4, v10, v6, v4
	v_sub_co_u32 v6, vcc_lo, v7, v9
	s_addc_u32 s7, s7, 0
	s_add_u32 s20, s20, 8
	v_sub_co_ci_u32_e32 v4, vcc_lo, v8, v4, vcc_lo
	s_addc_u32 s21, s21, 0
	s_waitcnt lgkmcnt(0)
	v_mul_lo_u32 v7, s0, v4
	v_mul_lo_u32 v8, s1, v6
	v_mad_u64_u32 v[1:2], null, s0, v6, v[1:2]
	v_mul_lo_u32 v4, s24, v4
	v_mul_lo_u32 v9, s25, v6
	v_mad_u64_u32 v[76:77], null, s24, v6, v[76:77]
	v_cmp_ge_u64_e64 s0, s[22:23], s[14:15]
	v_add3_u32 v2, v8, v2, v7
	v_add3_u32 v77, v9, v77, v4
	s_and_b32 vcc_lo, exec_lo, s0
	s_cbranch_vccnz .LBB0_8
; %bb.7:                                ;   in Loop: Header=BB0_2 Depth=1
	v_mov_b32_e32 v7, v78
	v_mov_b32_e32 v8, v79
	s_branch .LBB0_2
.LBB0_8:
	v_mul_hi_u32 v4, 0x24924925, v3
	s_load_dwordx2 s[0:1], s[4:5], 0x28
	s_lshl_b64 s[4:5], s[14:15], 3
                                        ; implicit-def: $vgpr80
	s_add_u32 s2, s18, s4
	s_addc_u32 s3, s19, s5
	v_sub_nc_u32_e32 v5, v3, v4
	v_lshrrev_b32_e32 v5, 1, v5
	v_add_nc_u32_e32 v4, v5, v4
	s_waitcnt lgkmcnt(0)
	v_cmp_gt_u64_e32 vcc_lo, s[0:1], v[78:79]
	v_cmp_le_u64_e64 s0, s[0:1], v[78:79]
	v_lshrrev_b32_e32 v4, 2, v4
	v_mul_lo_u32 v5, v4, 7
	v_mul_hi_u32 v4, 0x7878788, v0
	v_sub_nc_u32_e32 v3, v3, v5
	s_and_saveexec_b32 s1, s0
	s_xor_b32 s0, exec_lo, s1
; %bb.9:
	v_mul_u32_u24_e32 v1, 34, v4
                                        ; implicit-def: $vgpr4
	v_sub_nc_u32_e32 v80, v0, v1
                                        ; implicit-def: $vgpr0
                                        ; implicit-def: $vgpr1_vgpr2
; %bb.10:
	s_or_saveexec_b32 s1, s0
	s_load_dwordx2 s[2:3], s[2:3], 0x0
	v_mul_u32_u24_e32 v3, 0x133, v3
	v_lshlrev_b32_e32 v172, 4, v3
	s_xor_b32 exec_lo, exec_lo, s1
	s_cbranch_execz .LBB0_14
; %bb.11:
	s_add_u32 s4, s16, s4
	s_addc_u32 s5, s17, s5
	v_lshlrev_b64 v[1:2], 4, v[1:2]
	s_load_dwordx2 s[4:5], s[4:5], 0x0
	s_waitcnt lgkmcnt(0)
	v_mul_lo_u32 v7, s5, v78
	v_mul_lo_u32 v8, s4, v79
	v_mad_u64_u32 v[5:6], null, s4, v78, 0
	s_mov_b32 s4, exec_lo
	v_add3_u32 v6, v6, v8, v7
	v_mul_u32_u24_e32 v7, 34, v4
	v_lshlrev_b64 v[4:5], 4, v[5:6]
	v_sub_nc_u32_e32 v80, v0, v7
	v_lshlrev_b32_e32 v40, 4, v80
	v_add_co_u32 v0, s0, s8, v4
	v_add_co_ci_u32_e64 v4, s0, s9, v5, s0
	v_add_co_u32 v0, s0, v0, v1
	v_add_co_ci_u32_e64 v1, s0, v4, v2, s0
	v_add3_u32 v2, 0, v172, v40
	v_add_co_u32 v20, s0, v0, v40
	v_add_co_ci_u32_e64 v21, s0, 0, v1, s0
	s_clause 0x3
	global_load_dwordx4 v[4:7], v[20:21], off
	global_load_dwordx4 v[8:11], v[20:21], off offset:544
	global_load_dwordx4 v[12:15], v[20:21], off offset:1088
	global_load_dwordx4 v[16:19], v[20:21], off offset:1632
	v_add_co_u32 v32, s0, 0x800, v20
	v_add_co_ci_u32_e64 v33, s0, 0, v21, s0
	v_add_co_u32 v36, s0, 0x1000, v20
	v_add_co_ci_u32_e64 v37, s0, 0, v21, s0
	s_clause 0x4
	global_load_dwordx4 v[20:23], v[32:33], off offset:128
	global_load_dwordx4 v[24:27], v[32:33], off offset:672
	;; [unrolled: 1-line block ×5, first 2 shown]
	s_waitcnt vmcnt(8)
	ds_write_b128 v2, v[4:7]
	s_waitcnt vmcnt(7)
	ds_write_b128 v2, v[8:11] offset:544
	s_waitcnt vmcnt(6)
	ds_write_b128 v2, v[12:15] offset:1088
	;; [unrolled: 2-line block ×8, first 2 shown]
	v_cmpx_eq_u32_e32 33, v80
	s_cbranch_execz .LBB0_13
; %bb.12:
	v_add_co_u32 v0, s0, 0x1000, v0
	v_add_co_ci_u32_e64 v1, s0, 0, v1, s0
	v_mov_b32_e32 v80, 33
	global_load_dwordx4 v[4:7], v[0:1], off offset:800
	s_waitcnt vmcnt(0)
	ds_write_b128 v2, v[4:7] offset:4368
.LBB0_13:
	s_or_b32 exec_lo, exec_lo, s4
.LBB0_14:
	s_or_b32 exec_lo, exec_lo, s1
	v_lshl_add_u32 v169, v3, 4, 0
	v_lshlrev_b32_e32 v6, 4, v80
	s_waitcnt lgkmcnt(0)
	s_barrier
	buffer_gl0_inv
	s_add_u32 s1, s12, 0x1210
	v_add_nc_u32_e32 v170, v169, v6
	v_sub_nc_u32_e32 v7, v169, v6
	s_addc_u32 s4, s13, 0
	s_mov_b32 s5, exec_lo
	ds_read_b64 v[2:3], v170
	ds_read_b64 v[4:5], v7 offset:4896
	s_waitcnt lgkmcnt(0)
	v_add_f64 v[0:1], v[2:3], v[4:5]
	v_add_f64 v[2:3], v[2:3], -v[4:5]
                                        ; implicit-def: $vgpr4_vgpr5
	v_cmpx_ne_u32_e32 0, v80
	s_xor_b32 s5, exec_lo, s5
	s_cbranch_execz .LBB0_16
; %bb.15:
	v_mov_b32_e32 v81, 0
	v_lshlrev_b64 v[4:5], 4, v[80:81]
	v_add_co_u32 v4, s0, s1, v4
	v_add_co_ci_u32_e64 v5, s0, s4, v5, s0
	global_load_dwordx4 v[8:11], v[4:5], off
	ds_read_b64 v[4:5], v7 offset:4904
	ds_read_b64 v[12:13], v170 offset:8
	s_waitcnt lgkmcnt(0)
	v_add_f64 v[14:15], v[4:5], v[12:13]
	v_add_f64 v[4:5], v[12:13], -v[4:5]
	s_waitcnt vmcnt(0)
	v_fma_f64 v[12:13], v[2:3], v[10:11], v[0:1]
	v_fma_f64 v[16:17], v[14:15], v[10:11], v[4:5]
	v_fma_f64 v[0:1], -v[2:3], v[10:11], v[0:1]
	v_fma_f64 v[4:5], v[14:15], v[10:11], -v[4:5]
	v_fma_f64 v[10:11], -v[14:15], v[8:9], v[12:13]
	v_fma_f64 v[12:13], v[2:3], v[8:9], v[16:17]
	v_fma_f64 v[0:1], v[14:15], v[8:9], v[0:1]
	;; [unrolled: 1-line block ×3, first 2 shown]
	v_mov_b32_e32 v4, v80
	v_mov_b32_e32 v5, v81
	ds_write_b128 v170, v[10:13]
	ds_write_b128 v7, v[0:3] offset:4896
                                        ; implicit-def: $vgpr0_vgpr1
.LBB0_16:
	s_andn2_saveexec_b32 s0, s5
	s_cbranch_execz .LBB0_18
; %bb.17:
	ds_write_b128 v170, v[0:3]
	ds_read_b128 v[0:3], v169 offset:2448
	v_mov_b32_e32 v4, 0
	v_mov_b32_e32 v5, 0
	s_waitcnt lgkmcnt(0)
	v_add_f64 v[0:1], v[0:1], v[0:1]
	v_mul_f64 v[2:3], v[2:3], -2.0
	ds_write_b128 v169, v[0:3] offset:2448
.LBB0_18:
	s_or_b32 exec_lo, exec_lo, s0
	v_lshlrev_b64 v[0:1], 4, v[4:5]
	v_add_co_u32 v0, s0, s1, v0
	v_add_co_ci_u32_e64 v1, s0, s4, v1, s0
	v_cmp_gt_u32_e64 s0, 17, v80
	s_clause 0x2
	global_load_dwordx4 v[2:5], v[0:1], off offset:544
	global_load_dwordx4 v[8:11], v[0:1], off offset:1088
	;; [unrolled: 1-line block ×3, first 2 shown]
	ds_read_b128 v[16:19], v170 offset:544
	ds_read_b128 v[20:23], v7 offset:4352
	s_waitcnt lgkmcnt(0)
	v_add_f64 v[24:25], v[16:17], v[20:21]
	v_add_f64 v[26:27], v[22:23], v[18:19]
	v_add_f64 v[28:29], v[16:17], -v[20:21]
	v_add_f64 v[16:17], v[18:19], -v[22:23]
	s_waitcnt vmcnt(2)
	v_fma_f64 v[18:19], v[28:29], v[4:5], v[24:25]
	v_fma_f64 v[20:21], v[26:27], v[4:5], v[16:17]
	v_fma_f64 v[22:23], -v[28:29], v[4:5], v[24:25]
	v_fma_f64 v[4:5], v[26:27], v[4:5], -v[16:17]
	v_fma_f64 v[16:17], -v[26:27], v[2:3], v[18:19]
	v_fma_f64 v[18:19], v[28:29], v[2:3], v[20:21]
	v_fma_f64 v[20:21], v[26:27], v[2:3], v[22:23]
	v_fma_f64 v[22:23], v[28:29], v[2:3], v[4:5]
	ds_write_b128 v170, v[16:19] offset:544
	ds_write_b128 v7, v[20:23] offset:4352
	ds_read_b128 v[2:5], v170 offset:1088
	ds_read_b128 v[16:19], v7 offset:3808
	s_waitcnt lgkmcnt(0)
	v_add_f64 v[20:21], v[2:3], v[16:17]
	v_add_f64 v[22:23], v[18:19], v[4:5]
	v_add_f64 v[24:25], v[2:3], -v[16:17]
	v_add_f64 v[2:3], v[4:5], -v[18:19]
	s_waitcnt vmcnt(1)
	v_fma_f64 v[4:5], v[24:25], v[10:11], v[20:21]
	v_fma_f64 v[16:17], v[22:23], v[10:11], v[2:3]
	v_fma_f64 v[18:19], -v[24:25], v[10:11], v[20:21]
	v_fma_f64 v[10:11], v[22:23], v[10:11], -v[2:3]
	v_fma_f64 v[2:3], -v[22:23], v[8:9], v[4:5]
	v_fma_f64 v[4:5], v[24:25], v[8:9], v[16:17]
	v_fma_f64 v[16:17], v[22:23], v[8:9], v[18:19]
	v_fma_f64 v[18:19], v[24:25], v[8:9], v[10:11]
	ds_write_b128 v170, v[2:5] offset:1088
	ds_write_b128 v7, v[16:19] offset:3808
	;; [unrolled: 18-line block ×3, first 2 shown]
	s_and_saveexec_b32 s4, s0
	s_cbranch_execz .LBB0_20
; %bb.19:
	v_add_co_u32 v0, s1, 0x800, v0
	v_add_co_ci_u32_e64 v1, s1, 0, v1, s1
	global_load_dwordx4 v[0:3], v[0:1], off offset:128
	ds_read_b128 v[8:11], v170 offset:2176
	ds_read_b128 v[12:15], v7 offset:2720
	s_waitcnt lgkmcnt(0)
	v_add_f64 v[4:5], v[8:9], v[12:13]
	v_add_f64 v[16:17], v[14:15], v[10:11]
	v_add_f64 v[12:13], v[8:9], -v[12:13]
	v_add_f64 v[8:9], v[10:11], -v[14:15]
	s_waitcnt vmcnt(0)
	v_fma_f64 v[10:11], v[12:13], v[2:3], v[4:5]
	v_fma_f64 v[14:15], v[16:17], v[2:3], v[8:9]
	v_fma_f64 v[18:19], -v[12:13], v[2:3], v[4:5]
	v_fma_f64 v[20:21], v[16:17], v[2:3], -v[8:9]
	v_fma_f64 v[2:3], -v[16:17], v[0:1], v[10:11]
	v_fma_f64 v[4:5], v[12:13], v[0:1], v[14:15]
	v_fma_f64 v[8:9], v[16:17], v[0:1], v[18:19]
	;; [unrolled: 1-line block ×3, first 2 shown]
	ds_write_b128 v170, v[2:5] offset:2176
	ds_write_b128 v7, v[8:11] offset:2720
.LBB0_20:
	s_or_b32 exec_lo, exec_lo, s4
	v_add3_u32 v171, 0, v6, v172
	s_waitcnt lgkmcnt(0)
	s_barrier
	buffer_gl0_inv
	s_barrier
	buffer_gl0_inv
	ds_read_b128 v[8:11], v171 offset:4608
	ds_read_b128 v[72:75], v171 offset:288
	;; [unrolled: 1-line block ×4, first 2 shown]
	ds_read_b128 v[24:27], v170
	s_mov_b32 s6, 0xacd6c6b4
	s_mov_b32 s4, 0x7faef3
	;; [unrolled: 1-line block ×4, first 2 shown]
	ds_read_b128 v[64:67], v171 offset:864
	ds_read_b128 v[16:19], v171 offset:4032
	s_mov_b32 s14, 0x5d8e7cdc
	s_mov_b32 s8, 0x370991
	;; [unrolled: 1-line block ×6, first 2 shown]
	ds_read_b128 v[20:23], v171 offset:3744
	ds_read_b128 v[60:63], v171 offset:1152
	s_mov_b32 s18, 0x4363dd80
	s_mov_b32 s16, 0x910ea3b9
	;; [unrolled: 1-line block ×3, first 2 shown]
	s_waitcnt lgkmcnt(7)
	v_add_f64 v[89:90], v[74:75], -v[10:11]
	v_add_f64 v[83:84], v[74:75], v[10:11]
	s_waitcnt lgkmcnt(5)
	v_add_f64 v[91:92], v[70:71], -v[14:15]
	v_add_f64 v[81:82], v[70:71], v[14:15]
	v_add_f64 v[95:96], v[72:73], v[8:9]
	v_add_f64 v[99:100], v[72:73], -v[8:9]
	v_add_f64 v[87:88], v[68:69], v[12:13]
	v_add_f64 v[97:98], v[68:69], -v[12:13]
	s_waitcnt lgkmcnt(2)
	v_add_f64 v[93:94], v[66:67], -v[18:19]
	v_add_f64 v[85:86], v[66:67], v[18:19]
	s_mov_b32 s19, 0xbfe0d888
	s_mov_b32 s17, 0xbfeb34fa
	;; [unrolled: 1-line block ×3, first 2 shown]
	v_add_f64 v[129:130], v[64:65], v[16:17]
	v_add_f64 v[143:144], v[64:65], -v[16:17]
	ds_read_b128 v[56:59], v171 offset:1440
	ds_read_b128 v[28:31], v171 offset:3456
	s_waitcnt lgkmcnt(2)
	v_add_f64 v[131:132], v[62:63], -v[22:23]
	v_add_f64 v[111:112], v[62:63], v[22:23]
	s_mov_b32 s44, 0x2a9d6da3
	s_mov_b32 s34, 0x75d4884
	;; [unrolled: 1-line block ×4, first 2 shown]
	v_mul_f64 v[0:1], v[89:90], s[6:7]
	v_mul_f64 v[2:3], v[83:84], s[4:5]
	;; [unrolled: 1-line block ×4, first 2 shown]
	s_mov_b32 s35, 0x3fe7a5f6
	s_mov_b32 s30, s18
	v_add_f64 v[119:120], v[60:61], v[20:21]
	v_add_f64 v[141:142], v[60:61], -v[20:21]
	v_mul_f64 v[36:37], v[93:94], s[18:19]
	v_mul_f64 v[38:39], v[85:86], s[16:17]
	s_mov_b32 s24, 0x6c9a05f6
	s_mov_b32 s20, 0x6ed5f1bb
	;; [unrolled: 1-line block ×3, first 2 shown]
	s_waitcnt lgkmcnt(0)
	v_add_f64 v[127:128], v[58:59], -v[30:31]
	v_add_f64 v[103:104], v[58:59], v[30:31]
	s_mov_b32 s25, 0xbfe9895b
	v_mul_f64 v[101:102], v[131:132], s[44:45]
	v_mul_f64 v[107:108], v[111:112], s[34:35]
	s_mov_b32 s21, 0xbfe348c8
	s_mov_b32 s48, s44
	v_add_f64 v[115:116], v[56:57], v[28:29]
	v_add_f64 v[139:140], v[56:57], -v[28:29]
	v_fma_f64 v[32:33], v[95:96], s[4:5], v[0:1]
	v_fma_f64 v[34:35], v[99:100], s[36:37], v[2:3]
	v_fma_f64 v[0:1], v[95:96], s[4:5], -v[0:1]
	v_fma_f64 v[2:3], v[99:100], s[6:7], v[2:3]
	v_fma_f64 v[40:41], v[87:88], s[8:9], v[4:5]
	v_fma_f64 v[42:43], v[97:98], s[46:47], v[6:7]
	v_fma_f64 v[4:5], v[87:88], s[8:9], -v[4:5]
	v_fma_f64 v[6:7], v[97:98], s[14:15], v[6:7]
	;; [unrolled: 4-line block ×3, first 2 shown]
	s_mov_b32 s26, 0x7c9e640b
	s_mov_b32 s22, 0x2b2883cd
	;; [unrolled: 1-line block ×4, first 2 shown]
	v_fma_f64 v[133:134], v[119:120], s[34:35], v[101:102]
	v_fma_f64 v[137:138], v[141:142], s[48:49], v[107:108]
	v_fma_f64 v[101:102], v[119:120], s[34:35], -v[101:102]
	v_fma_f64 v[145:146], v[141:142], s[44:45], v[107:108]
	ds_read_b128 v[52:55], v171 offset:1728
	s_mov_b32 s23, 0x3fdc86fa
	v_add_f64 v[44:45], v[24:25], v[32:33]
	v_add_f64 v[46:47], v[26:27], v[34:35]
	;; [unrolled: 1-line block ×4, first 2 shown]
	ds_read_b128 v[32:35], v171 offset:3168
	ds_read_b128 v[48:51], v171 offset:2016
	;; [unrolled: 1-line block ×3, first 2 shown]
	s_mov_b32 s54, s24
	s_mov_b32 s40, 0x923c349f
	;; [unrolled: 1-line block ×15, first 2 shown]
	s_mov_b32 s33, exec_lo
	v_add_f64 v[40:41], v[40:41], v[44:45]
	v_add_f64 v[42:43], v[42:43], v[46:47]
	;; [unrolled: 1-line block ×4, first 2 shown]
	s_waitcnt lgkmcnt(2)
	v_add_f64 v[125:126], v[54:55], -v[34:35]
	v_add_f64 v[105:106], v[54:55], v[34:35]
	v_mul_f64 v[4:5], v[127:128], s[24:25]
	v_mul_f64 v[6:7], v[103:104], s[20:21]
	v_add_f64 v[135:136], v[52:53], -v[32:33]
	s_waitcnt lgkmcnt(0)
	v_add_f64 v[123:124], v[50:51], -v[38:39]
	v_add_f64 v[107:108], v[50:51], v[38:39]
	v_add_f64 v[109:110], v[109:110], v[40:41]
	;; [unrolled: 1-line block ×6, first 2 shown]
	v_mul_f64 v[147:148], v[125:126], s[26:27]
	v_mul_f64 v[149:150], v[105:106], s[22:23]
	v_fma_f64 v[151:152], v[115:116], s[20:21], v[4:5]
	v_fma_f64 v[153:154], v[139:140], s[54:55], v[6:7]
	v_fma_f64 v[4:5], v[115:116], s[20:21], -v[4:5]
	v_fma_f64 v[6:7], v[139:140], s[24:25], v[6:7]
	ds_read_b128 v[44:47], v171 offset:2304
	ds_read_b128 v[40:43], v171 offset:2592
	v_mul_f64 v[155:156], v[107:108], s[28:29]
	s_waitcnt lgkmcnt(0)
	s_barrier
	buffer_gl0_inv
	v_add_f64 v[109:110], v[133:134], v[109:110]
	v_add_f64 v[133:134], v[137:138], v[113:114]
	;; [unrolled: 1-line block ×5, first 2 shown]
	v_add_f64 v[137:138], v[48:49], -v[36:37]
	v_mul_f64 v[145:146], v[123:124], s[40:41]
	v_fma_f64 v[157:158], v[117:118], s[22:23], v[147:148]
	v_fma_f64 v[159:160], v[135:136], s[50:51], v[149:150]
	v_add_f64 v[121:122], v[46:47], -v[42:43]
	v_add_f64 v[101:102], v[46:47], v[42:43]
	v_fma_f64 v[147:148], v[117:118], s[22:23], -v[147:148]
	v_fma_f64 v[149:150], v[135:136], s[26:27], v[149:150]
	v_add_f64 v[151:152], v[151:152], v[109:110]
	v_add_f64 v[153:154], v[153:154], v[133:134]
	;; [unrolled: 1-line block ×5, first 2 shown]
	v_add_f64 v[133:134], v[44:45], -v[40:41]
	v_fma_f64 v[161:162], v[113:114], s[28:29], v[145:146]
	v_fma_f64 v[163:164], v[137:138], s[38:39], v[155:156]
	v_fma_f64 v[145:146], v[113:114], s[28:29], -v[145:146]
	v_mul_f64 v[4:5], v[121:122], s[56:57]
	v_mul_f64 v[6:7], v[101:102], s[42:43]
	v_fma_f64 v[155:156], v[137:138], s[40:41], v[155:156]
	v_add_f64 v[151:152], v[157:158], v[151:152]
	v_add_f64 v[153:154], v[159:160], v[153:154]
	;; [unrolled: 1-line block ×4, first 2 shown]
	v_fma_f64 v[147:148], v[109:110], s[42:43], v[4:5]
	v_fma_f64 v[149:150], v[133:134], s[52:53], v[6:7]
	v_fma_f64 v[4:5], v[109:110], s[42:43], -v[4:5]
	v_fma_f64 v[6:7], v[133:134], s[56:57], v[6:7]
	v_add_f64 v[151:152], v[161:162], v[151:152]
	v_add_f64 v[153:154], v[163:164], v[153:154]
	;; [unrolled: 1-line block ×8, first 2 shown]
	v_cmpx_gt_u32_e32 18, v80
	s_cbranch_execz .LBB0_22
; %bb.21:
	v_mul_f64 v[159:160], v[99:100], s[18:19]
	v_mul_f64 v[157:158], v[89:90], s[18:19]
	v_mul_f64 v[155:156], v[97:98], s[26:27]
	v_mul_f64 v[151:152], v[91:92], s[26:27]
	v_mul_f64 v[153:154], v[143:144], s[52:53]
	v_mul_f64 v[149:150], v[93:94], s[52:53]
	v_add_f64 v[74:75], v[26:27], v[74:75]
	v_add_f64 v[72:73], v[24:25], v[72:73]
	v_mul_f64 v[175:176], v[127:128], s[46:47]
	v_mul_f64 v[179:180], v[89:90], s[24:25]
	;; [unrolled: 1-line block ×3, first 2 shown]
	v_fma_f64 v[145:146], v[83:84], s[16:17], v[159:160]
	v_fma_f64 v[147:148], v[95:96], s[16:17], -v[157:158]
	v_fma_f64 v[163:164], v[81:82], s[22:23], v[155:156]
	v_fma_f64 v[167:168], v[87:88], s[22:23], -v[151:152]
	;; [unrolled: 2-line block ×4, first 2 shown]
	v_add_f64 v[70:71], v[74:75], v[70:71]
	v_add_f64 v[68:69], v[72:73], v[68:69]
	v_mul_f64 v[72:73], v[135:136], s[6:7]
	v_mul_f64 v[74:75], v[125:126], s[6:7]
	v_fma_f64 v[151:152], v[87:88], s[22:23], v[151:152]
	v_fma_f64 v[187:188], v[95:96], s[20:21], -v[179:180]
	v_fma_f64 v[153:154], v[85:86], s[42:43], -v[153:154]
	v_fma_f64 v[179:180], v[95:96], s[20:21], v[179:180]
	v_fma_f64 v[191:192], v[87:88], s[28:29], -v[185:186]
	v_add_f64 v[165:166], v[26:27], v[145:146]
	v_add_f64 v[173:174], v[24:25], v[147:148]
	v_mul_f64 v[147:148], v[141:142], s[54:55]
	v_mul_f64 v[145:146], v[131:132], s[54:55]
	v_add_f64 v[159:160], v[26:27], v[159:160]
	v_add_f64 v[157:158], v[24:25], v[157:158]
	;; [unrolled: 1-line block ×4, first 2 shown]
	v_mul_f64 v[68:69], v[123:124], s[44:45]
	v_mul_f64 v[70:71], v[143:144], s[46:47]
	v_add_f64 v[187:188], v[24:25], v[187:188]
	v_add_f64 v[179:180], v[24:25], v[179:180]
	;; [unrolled: 1-line block ×3, first 2 shown]
	v_fma_f64 v[163:164], v[129:130], s[42:43], -v[149:150]
	v_add_f64 v[167:168], v[167:168], v[173:174]
	v_mul_f64 v[173:174], v[139:140], s[46:47]
	v_fma_f64 v[177:178], v[111:112], s[20:21], v[147:148]
	v_add_f64 v[155:156], v[155:156], v[159:160]
	v_mul_f64 v[159:160], v[137:138], s[44:45]
	v_fma_f64 v[149:150], v[129:130], s[42:43], v[149:150]
	v_add_f64 v[151:152], v[151:152], v[157:158]
	v_fma_f64 v[157:158], v[105:106], s[4:5], v[72:73]
	v_fma_f64 v[147:148], v[111:112], s[20:21], -v[147:148]
	v_add_f64 v[193:194], v[66:67], v[62:63]
	v_add_f64 v[195:196], v[64:65], v[60:61]
	v_mul_f64 v[64:65], v[133:134], s[40:41]
	v_mul_f64 v[66:67], v[121:122], s[40:41]
	v_fma_f64 v[60:61], v[119:120], s[20:21], v[145:146]
	v_fma_f64 v[72:73], v[105:106], s[4:5], -v[72:73]
	v_add_f64 v[161:162], v[161:162], v[165:166]
	v_fma_f64 v[165:166], v[119:120], s[20:21], -v[145:146]
	v_add_f64 v[163:164], v[163:164], v[167:168]
	v_mul_f64 v[167:168], v[99:100], s[24:25]
	v_fma_f64 v[181:182], v[103:104], s[8:9], v[173:174]
	v_add_f64 v[153:154], v[153:154], v[155:156]
	v_mul_f64 v[155:156], v[141:142], s[18:19]
	v_mul_f64 v[145:146], v[99:100], s[40:41]
	v_add_f64 v[62:63], v[149:150], v[151:152]
	v_fma_f64 v[151:152], v[107:108], s[34:35], v[159:160]
	v_fma_f64 v[173:174], v[103:104], s[8:9], -v[173:174]
	v_fma_f64 v[159:160], v[107:108], s[34:35], -v[159:160]
	v_add_f64 v[161:162], v[177:178], v[161:162]
	v_fma_f64 v[177:178], v[115:116], s[8:9], -v[175:176]
	v_add_f64 v[163:164], v[165:166], v[163:164]
	v_mul_f64 v[165:166], v[97:98], s[38:39]
	v_fma_f64 v[183:184], v[83:84], s[20:21], v[167:168]
	v_fma_f64 v[167:168], v[83:84], s[20:21], -v[167:168]
	v_add_f64 v[147:148], v[147:148], v[153:154]
	v_mul_f64 v[153:154], v[89:90], s[40:41]
	v_add_f64 v[60:61], v[60:61], v[62:63]
	v_fma_f64 v[62:63], v[115:116], s[8:9], v[175:176]
	v_fma_f64 v[175:176], v[83:84], s[28:29], v[145:146]
	v_fma_f64 v[145:146], v[83:84], s[28:29], -v[145:146]
	v_add_f64 v[161:162], v[181:182], v[161:162]
	v_fma_f64 v[181:182], v[117:118], s[4:5], -v[74:75]
	v_add_f64 v[163:164], v[177:178], v[163:164]
	v_mul_f64 v[177:178], v[93:94], s[46:47]
	v_fma_f64 v[189:190], v[81:82], s[28:29], v[165:166]
	v_add_f64 v[183:184], v[26:27], v[183:184]
	v_fma_f64 v[165:166], v[81:82], s[28:29], -v[165:166]
	v_add_f64 v[167:168], v[26:27], v[167:168]
	v_add_f64 v[147:148], v[173:174], v[147:148]
	v_mul_f64 v[173:174], v[127:128], s[56:57]
	v_fma_f64 v[74:75], v[117:118], s[4:5], v[74:75]
	v_add_f64 v[145:146], v[26:27], v[145:146]
	v_add_f64 v[149:150], v[157:158], v[161:162]
	v_fma_f64 v[161:162], v[113:114], s[34:35], -v[68:69]
	v_add_f64 v[157:158], v[181:182], v[163:164]
	v_fma_f64 v[163:164], v[87:88], s[28:29], v[185:186]
	v_add_f64 v[185:186], v[191:192], v[187:188]
	v_add_f64 v[181:182], v[189:190], v[183:184]
	v_fma_f64 v[183:184], v[85:86], s[8:9], v[70:71]
	v_fma_f64 v[187:188], v[129:130], s[8:9], -v[177:178]
	v_add_f64 v[165:166], v[165:166], v[167:168]
	v_mul_f64 v[167:168], v[131:132], s[18:19]
	v_fma_f64 v[70:71], v[85:86], s[8:9], -v[70:71]
	v_mul_f64 v[189:190], v[97:98], s[30:31]
	v_fma_f64 v[177:178], v[129:130], s[8:9], v[177:178]
	v_mul_f64 v[191:192], v[91:92], s[30:31]
	v_add_f64 v[72:73], v[72:73], v[147:148]
	v_mul_f64 v[147:148], v[125:126], s[48:49]
	v_fma_f64 v[68:69], v[113:114], s[34:35], v[68:69]
	v_add_f64 v[149:150], v[151:152], v[149:150]
	v_fma_f64 v[151:152], v[101:102], s[28:29], v[64:65]
	v_add_f64 v[157:158], v[161:162], v[157:158]
	v_fma_f64 v[161:162], v[109:110], s[28:29], -v[66:67]
	v_add_f64 v[163:164], v[163:164], v[179:180]
	v_fma_f64 v[64:65], v[101:102], s[28:29], -v[64:65]
	v_add_f64 v[179:180], v[183:184], v[181:182]
	v_mul_f64 v[181:182], v[139:140], s[56:57]
	v_add_f64 v[183:184], v[187:188], v[185:186]
	v_fma_f64 v[185:186], v[111:112], s[16:17], v[155:156]
	v_add_f64 v[70:71], v[70:71], v[165:166]
	v_fma_f64 v[165:166], v[119:120], s[16:17], -v[167:168]
	v_fma_f64 v[155:156], v[111:112], s[16:17], -v[155:156]
	v_add_f64 v[187:188], v[62:63], v[60:61]
	v_fma_f64 v[167:168], v[119:120], s[16:17], v[167:168]
	v_add_f64 v[72:73], v[159:160], v[72:73]
	v_fma_f64 v[159:160], v[117:118], s[34:35], -v[147:148]
	v_fma_f64 v[147:148], v[117:118], s[34:35], v[147:148]
	v_add_f64 v[62:63], v[151:152], v[149:150]
	v_fma_f64 v[149:150], v[81:82], s[16:17], v[189:190]
	v_add_f64 v[60:61], v[161:162], v[157:158]
	v_add_f64 v[151:152], v[26:27], v[175:176]
	v_fma_f64 v[157:158], v[95:96], s[28:29], -v[153:154]
	v_add_f64 v[161:162], v[177:178], v[163:164]
	v_mul_f64 v[163:164], v[143:144], s[44:45]
	v_fma_f64 v[177:178], v[103:104], s[42:43], v[181:182]
	v_add_f64 v[175:176], v[185:186], v[179:180]
	v_fma_f64 v[179:180], v[115:116], s[42:43], -v[173:174]
	v_add_f64 v[165:166], v[165:166], v[183:184]
	v_add_f64 v[70:71], v[155:156], v[70:71]
	v_mul_f64 v[155:156], v[135:136], s[48:49]
	v_fma_f64 v[181:182], v[103:104], s[42:43], -v[181:182]
	v_add_f64 v[74:75], v[74:75], v[187:188]
	v_mul_f64 v[183:184], v[137:138], s[6:7]
	v_fma_f64 v[173:174], v[115:116], s[42:43], v[173:174]
	v_fma_f64 v[185:186], v[81:82], s[16:17], -v[189:190]
	v_fma_f64 v[187:188], v[109:110], s[28:29], v[66:67]
	v_fma_f64 v[153:154], v[95:96], s[28:29], v[153:154]
	v_add_f64 v[66:67], v[64:65], v[72:73]
	v_mul_f64 v[72:73], v[131:132], s[50:51]
	v_add_f64 v[189:190], v[193:194], v[58:59]
	v_add_f64 v[149:150], v[149:150], v[151:152]
	v_fma_f64 v[151:152], v[87:88], s[16:17], -v[191:192]
	v_add_f64 v[157:158], v[24:25], v[157:158]
	v_add_f64 v[161:162], v[167:168], v[161:162]
	v_mul_f64 v[167:168], v[93:94], s[44:45]
	v_add_f64 v[175:176], v[177:178], v[175:176]
	v_fma_f64 v[177:178], v[85:86], s[34:35], v[163:164]
	v_add_f64 v[165:166], v[179:180], v[165:166]
	v_mul_f64 v[179:180], v[141:142], s[50:51]
	v_fma_f64 v[163:164], v[85:86], s[34:35], -v[163:164]
	v_add_f64 v[70:71], v[181:182], v[70:71]
	v_fma_f64 v[181:182], v[105:106], s[34:35], v[155:156]
	v_fma_f64 v[155:156], v[105:106], s[34:35], -v[155:156]
	v_add_f64 v[68:69], v[68:69], v[74:75]
	v_mul_f64 v[74:75], v[123:124], s[6:7]
	v_add_f64 v[145:146], v[185:186], v[145:146]
	v_mul_f64 v[185:186], v[139:140], s[6:7]
	v_add_f64 v[153:154], v[24:25], v[153:154]
	v_fma_f64 v[193:194], v[119:120], s[22:23], -v[72:73]
	v_fma_f64 v[72:73], v[119:120], s[22:23], v[72:73]
	v_add_f64 v[151:152], v[151:152], v[157:158]
	v_mul_f64 v[157:158], v[133:134], s[26:27]
	v_add_f64 v[161:162], v[173:174], v[161:162]
	v_mul_f64 v[173:174], v[121:122], s[26:27]
	v_add_f64 v[149:150], v[177:178], v[149:150]
	v_fma_f64 v[177:178], v[129:130], s[34:35], -v[167:168]
	v_add_f64 v[159:160], v[159:160], v[165:166]
	v_fma_f64 v[165:166], v[107:108], s[4:5], v[183:184]
	v_fma_f64 v[183:184], v[107:108], s[4:5], -v[183:184]
	v_add_f64 v[175:176], v[181:182], v[175:176]
	v_fma_f64 v[181:182], v[111:112], s[22:23], v[179:180]
	v_add_f64 v[70:71], v[155:156], v[70:71]
	v_fma_f64 v[155:156], v[113:114], s[4:5], -v[74:75]
	v_add_f64 v[64:65], v[187:188], v[68:69]
	v_mul_f64 v[68:69], v[99:100], s[52:53]
	v_fma_f64 v[74:75], v[113:114], s[4:5], v[74:75]
	v_fma_f64 v[187:188], v[87:88], s[16:17], v[191:192]
	v_add_f64 v[145:146], v[163:164], v[145:146]
	v_mul_f64 v[163:164], v[97:98], s[6:7]
	v_add_f64 v[191:192], v[195:196], v[56:57]
	v_mul_f64 v[195:196], v[127:128], s[6:7]
	v_fma_f64 v[179:180], v[111:112], s[22:23], -v[179:180]
	v_add_f64 v[147:148], v[147:148], v[161:162]
	v_mul_f64 v[161:162], v[135:136], s[56:57]
	v_add_f64 v[151:152], v[177:178], v[151:152]
	v_mul_f64 v[177:178], v[89:90], s[52:53]
	v_add_f64 v[165:166], v[165:166], v[175:176]
	v_add_f64 v[149:150], v[181:182], v[149:150]
	v_fma_f64 v[181:182], v[101:102], s[22:23], v[157:158]
	v_fma_f64 v[175:176], v[109:110], s[22:23], -v[173:174]
	v_add_f64 v[155:156], v[155:156], v[159:160]
	v_fma_f64 v[159:160], v[103:104], s[4:5], v[185:186]
	v_add_f64 v[70:71], v[183:184], v[70:71]
	v_fma_f64 v[183:184], v[83:84], s[42:43], v[68:69]
	v_fma_f64 v[68:69], v[83:84], s[42:43], -v[68:69]
	v_fma_f64 v[157:158], v[101:102], s[22:23], -v[157:158]
	v_fma_f64 v[173:174], v[109:110], s[22:23], v[173:174]
	v_add_f64 v[145:146], v[179:180], v[145:146]
	v_fma_f64 v[179:180], v[103:104], s[4:5], -v[185:186]
	v_add_f64 v[185:186], v[191:192], v[52:53]
	v_add_f64 v[74:75], v[74:75], v[147:148]
	;; [unrolled: 1-line block ×3, first 2 shown]
	v_mul_f64 v[153:154], v[91:92], s[6:7]
	v_add_f64 v[151:152], v[193:194], v[151:152]
	v_fma_f64 v[187:188], v[95:96], s[42:43], -v[177:178]
	v_mul_f64 v[191:192], v[93:94], s[38:39]
	v_add_f64 v[58:59], v[181:182], v[165:166]
	v_fma_f64 v[165:166], v[129:130], s[34:35], v[167:168]
	v_add_f64 v[56:57], v[175:176], v[155:156]
	v_add_f64 v[149:150], v[159:160], v[149:150]
	v_fma_f64 v[155:156], v[105:106], s[42:43], v[161:162]
	v_mul_f64 v[159:160], v[143:144], s[38:39]
	v_fma_f64 v[167:168], v[81:82], s[4:5], v[163:164]
	v_add_f64 v[175:176], v[26:27], v[183:184]
	v_fma_f64 v[181:182], v[115:116], s[4:5], -v[195:196]
	v_add_f64 v[183:184], v[189:190], v[54:55]
	v_mul_f64 v[189:190], v[125:126], s[56:57]
	v_fma_f64 v[163:164], v[81:82], s[4:5], -v[163:164]
	v_add_f64 v[68:69], v[26:27], v[68:69]
	v_add_f64 v[145:146], v[179:180], v[145:146]
	v_fma_f64 v[161:162], v[105:106], s[42:43], -v[161:162]
	v_fma_f64 v[52:53], v[87:88], s[4:5], -v[153:154]
	v_fma_f64 v[195:196], v[115:116], s[4:5], v[195:196]
	v_add_f64 v[54:55], v[24:25], v[187:188]
	v_fma_f64 v[193:194], v[129:130], s[28:29], -v[191:192]
	v_add_f64 v[48:49], v[185:186], v[48:49]
	v_fma_f64 v[153:154], v[87:88], s[4:5], v[153:154]
	v_add_f64 v[147:148], v[165:166], v[147:148]
	v_mul_f64 v[165:166], v[137:138], s[46:47]
	v_add_f64 v[149:150], v[155:156], v[149:150]
	v_mul_f64 v[155:156], v[141:142], s[14:15]
	v_add_f64 v[167:168], v[167:168], v[175:176]
	v_fma_f64 v[175:176], v[85:86], s[28:29], v[159:160]
	v_add_f64 v[151:152], v[181:182], v[151:152]
	v_mul_f64 v[181:182], v[123:124], s[46:47]
	v_fma_f64 v[179:180], v[117:118], s[42:43], -v[189:190]
	v_add_f64 v[68:69], v[163:164], v[68:69]
	v_mul_f64 v[163:164], v[131:132], s[14:15]
	v_fma_f64 v[159:160], v[85:86], s[28:29], -v[159:160]
	v_add_f64 v[50:51], v[183:184], v[50:51]
	v_add_f64 v[145:146], v[161:162], v[145:146]
	;; [unrolled: 1-line block ×4, first 2 shown]
	v_fma_f64 v[70:71], v[95:96], s[42:43], v[177:178]
	v_add_f64 v[52:53], v[173:174], v[74:75]
	v_mul_f64 v[74:75], v[99:100], s[50:51]
	v_mul_f64 v[157:158], v[89:90], s[50:51]
	v_add_f64 v[72:73], v[72:73], v[147:148]
	v_fma_f64 v[147:148], v[107:108], s[8:9], v[165:166]
	v_mul_f64 v[177:178], v[139:140], s[50:51]
	v_mul_f64 v[161:162], v[97:98], s[24:25]
	v_fma_f64 v[173:174], v[111:112], s[8:9], v[155:156]
	v_fma_f64 v[155:156], v[111:112], s[8:9], -v[155:156]
	v_fma_f64 v[165:166], v[107:108], s[8:9], -v[165:166]
	v_add_f64 v[167:168], v[175:176], v[167:168]
	v_add_f64 v[44:45], v[48:49], v[44:45]
	v_fma_f64 v[175:176], v[113:114], s[8:9], -v[181:182]
	v_add_f64 v[151:152], v[179:180], v[151:152]
	v_fma_f64 v[181:182], v[113:114], s[8:9], v[181:182]
	v_fma_f64 v[183:184], v[119:120], s[8:9], -v[163:164]
	v_add_f64 v[68:69], v[159:160], v[68:69]
	v_mul_f64 v[159:160], v[127:128], s[50:51]
	v_add_f64 v[46:47], v[50:51], v[46:47]
	v_add_f64 v[179:180], v[193:194], v[187:188]
	v_mul_f64 v[187:188], v[91:92], s[24:25]
	v_add_f64 v[70:71], v[24:25], v[70:71]
	v_fma_f64 v[185:186], v[83:84], s[22:23], v[74:75]
	v_fma_f64 v[74:75], v[83:84], s[22:23], -v[74:75]
	v_add_f64 v[72:73], v[195:196], v[72:73]
	v_add_f64 v[147:148], v[147:148], v[149:150]
	v_fma_f64 v[149:150], v[117:118], s[42:43], v[189:190]
	v_fma_f64 v[189:190], v[95:96], s[22:23], -v[157:158]
	v_add_f64 v[145:146], v[165:166], v[145:146]
	v_add_f64 v[167:168], v[173:174], v[167:168]
	v_mul_f64 v[173:174], v[135:136], s[18:19]
	v_mul_f64 v[165:166], v[137:138], s[54:55]
	v_add_f64 v[151:152], v[175:176], v[151:152]
	v_fma_f64 v[175:176], v[103:104], s[22:23], v[177:178]
	v_add_f64 v[40:41], v[44:45], v[40:41]
	v_add_f64 v[68:69], v[155:156], v[68:69]
	v_fma_f64 v[155:156], v[103:104], s[22:23], -v[177:178]
	v_mul_f64 v[177:178], v[125:126], s[18:19]
	v_add_f64 v[50:51], v[183:184], v[179:180]
	v_fma_f64 v[179:180], v[115:116], s[22:23], -v[159:160]
	v_add_f64 v[70:71], v[153:154], v[70:71]
	v_fma_f64 v[183:184], v[87:88], s[20:21], -v[187:188]
	v_add_f64 v[153:154], v[26:27], v[185:186]
	v_add_f64 v[74:75], v[26:27], v[74:75]
	v_fma_f64 v[159:160], v[115:116], s[22:23], v[159:160]
	v_add_f64 v[42:43], v[46:47], v[42:43]
	v_add_f64 v[48:49], v[149:150], v[72:73]
	v_fma_f64 v[72:73], v[129:130], s[28:29], v[191:192]
	v_fma_f64 v[149:150], v[81:82], s[20:21], v[161:162]
	v_add_f64 v[185:186], v[24:25], v[189:190]
	v_mul_f64 v[189:190], v[143:144], s[36:37]
	v_fma_f64 v[161:162], v[81:82], s[20:21], -v[161:162]
	v_mul_f64 v[191:192], v[93:94], s[36:37]
	v_mul_f64 v[44:45], v[99:100], s[46:47]
	;; [unrolled: 1-line block ×3, first 2 shown]
	v_add_f64 v[167:168], v[175:176], v[167:168]
	v_fma_f64 v[175:176], v[105:106], s[16:17], v[173:174]
	v_fma_f64 v[173:174], v[105:106], s[16:17], -v[173:174]
	v_add_f64 v[68:69], v[155:156], v[68:69]
	v_fma_f64 v[155:156], v[117:118], s[16:17], -v[177:178]
	v_add_f64 v[36:37], v[40:41], v[36:37]
	v_add_f64 v[50:51], v[179:180], v[50:51]
	v_mul_f64 v[179:180], v[123:124], s[54:55]
	v_fma_f64 v[177:178], v[117:118], s[16:17], v[177:178]
	v_add_f64 v[38:39], v[42:43], v[38:39]
	v_add_f64 v[48:49], v[181:182], v[48:49]
	;; [unrolled: 1-line block ×3, first 2 shown]
	v_fma_f64 v[72:73], v[119:120], s[8:9], v[163:164]
	v_add_f64 v[149:150], v[149:150], v[153:154]
	v_fma_f64 v[153:154], v[95:96], s[22:23], v[157:158]
	v_add_f64 v[157:158], v[183:184], v[185:186]
	v_fma_f64 v[163:164], v[85:86], s[4:5], v[189:190]
	v_mul_f64 v[183:184], v[141:142], s[38:39]
	v_fma_f64 v[185:186], v[129:130], s[4:5], -v[191:192]
	v_add_f64 v[74:75], v[161:162], v[74:75]
	v_mul_f64 v[161:162], v[131:132], s[38:39]
	v_fma_f64 v[189:190], v[85:86], s[4:5], -v[189:190]
	v_add_f64 v[167:168], v[175:176], v[167:168]
	v_fma_f64 v[175:176], v[107:108], s[20:21], v[165:166]
	v_add_f64 v[68:69], v[173:174], v[68:69]
	v_add_f64 v[50:51], v[155:156], v[50:51]
	v_fma_f64 v[155:156], v[113:114], s[20:21], -v[179:180]
	v_fma_f64 v[165:166], v[107:108], s[20:21], -v[165:166]
	v_mul_f64 v[173:174], v[139:140], s[44:45]
	v_fma_f64 v[40:41], v[83:84], s[8:9], v[44:45]
	v_fma_f64 v[42:43], v[95:96], s[8:9], -v[46:47]
	v_fma_f64 v[44:45], v[83:84], s[8:9], -v[44:45]
	v_fma_f64 v[46:47], v[95:96], s[8:9], v[46:47]
	v_add_f64 v[34:35], v[38:39], v[34:35]
	v_add_f64 v[70:71], v[72:73], v[70:71]
	v_fma_f64 v[72:73], v[87:88], s[20:21], v[187:188]
	v_add_f64 v[153:154], v[24:25], v[153:154]
	v_add_f64 v[32:33], v[36:37], v[32:33]
	;; [unrolled: 1-line block ×3, first 2 shown]
	v_fma_f64 v[163:164], v[111:112], s[28:29], v[183:184]
	v_add_f64 v[157:158], v[185:186], v[157:158]
	v_mul_f64 v[185:186], v[127:128], s[44:45]
	v_fma_f64 v[187:188], v[119:120], s[28:29], -v[161:162]
	v_add_f64 v[74:75], v[189:190], v[74:75]
	v_fma_f64 v[181:182], v[111:112], s[28:29], -v[183:184]
	v_mul_f64 v[183:184], v[99:100], s[48:49]
	v_mul_f64 v[189:190], v[89:90], s[48:49]
	v_add_f64 v[167:168], v[175:176], v[167:168]
	v_add_f64 v[50:51], v[155:156], v[50:51]
	;; [unrolled: 1-line block ×3, first 2 shown]
	v_fma_f64 v[155:156], v[103:104], s[34:35], v[173:174]
	v_fma_f64 v[165:166], v[103:104], s[34:35], -v[173:174]
	v_mul_f64 v[89:90], v[133:134], s[24:25]
	v_fma_f64 v[99:100], v[129:130], s[4:5], v[191:192]
	v_add_f64 v[40:41], v[26:27], v[40:41]
	v_add_f64 v[42:43], v[24:25], v[42:43]
	;; [unrolled: 1-line block ×3, first 2 shown]
	v_mul_f64 v[38:39], v[143:144], s[50:51]
	v_add_f64 v[72:73], v[72:73], v[153:154]
	v_mul_f64 v[153:154], v[135:136], s[46:47]
	v_fma_f64 v[161:162], v[119:120], s[28:29], v[161:162]
	v_add_f64 v[149:150], v[163:164], v[149:150]
	v_mul_f64 v[163:164], v[125:126], s[46:47]
	v_fma_f64 v[159:160], v[115:116], s[34:35], -v[185:186]
	v_add_f64 v[157:158], v[187:188], v[157:158]
	v_add_f64 v[30:31], v[34:35], v[30:31]
	;; [unrolled: 1-line block ×3, first 2 shown]
	v_fma_f64 v[173:174], v[83:84], s[34:35], v[183:184]
	v_fma_f64 v[175:176], v[95:96], s[34:35], -v[189:190]
	v_fma_f64 v[181:182], v[83:84], s[34:35], -v[183:184]
	v_fma_f64 v[183:184], v[95:96], s[34:35], v[189:190]
	v_mul_f64 v[95:96], v[97:98], s[52:53]
	v_mul_f64 v[97:98], v[97:98], s[48:49]
	v_add_f64 v[28:29], v[32:33], v[28:29]
	v_fma_f64 v[179:180], v[113:114], s[20:21], v[179:180]
	v_mul_f64 v[83:84], v[121:122], s[24:25]
	v_add_f64 v[70:71], v[177:178], v[70:71]
	v_mul_f64 v[177:178], v[121:122], s[44:45]
	v_add_f64 v[72:73], v[99:100], v[72:73]
	v_fma_f64 v[99:100], v[101:102], s[20:21], -v[89:90]
	v_fma_f64 v[89:90], v[101:102], s[20:21], v[89:90]
	v_add_f64 v[149:150], v[155:156], v[149:150]
	v_fma_f64 v[155:156], v[105:106], s[8:9], v[153:154]
	v_fma_f64 v[153:154], v[105:106], s[8:9], -v[153:154]
	v_add_f64 v[157:158], v[159:160], v[157:158]
	v_fma_f64 v[159:160], v[117:118], s[8:9], -v[163:164]
	v_add_f64 v[74:75], v[165:166], v[74:75]
	v_mul_f64 v[165:166], v[91:92], s[52:53]
	v_mul_f64 v[91:92], v[91:92], s[48:49]
	v_add_f64 v[173:174], v[26:27], v[173:174]
	v_add_f64 v[175:176], v[24:25], v[175:176]
	;; [unrolled: 1-line block ×6, first 2 shown]
	v_fma_f64 v[24:25], v[81:82], s[42:43], -v[95:96]
	v_mul_f64 v[46:47], v[143:144], s[24:25]
	v_fma_f64 v[95:96], v[81:82], s[42:43], v[95:96]
	v_fma_f64 v[36:37], v[81:82], s[34:35], -v[97:98]
	v_mul_f64 v[143:144], v[93:94], s[24:25]
	v_mul_f64 v[93:94], v[93:94], s[50:51]
	v_fma_f64 v[81:82], v[81:82], s[34:35], v[97:98]
	v_add_f64 v[72:73], v[161:162], v[72:73]
	v_fma_f64 v[161:162], v[115:116], s[34:35], v[185:186]
	v_add_f64 v[149:150], v[155:156], v[149:150]
	v_add_f64 v[22:23], v[30:31], v[22:23]
	;; [unrolled: 1-line block ×4, first 2 shown]
	v_fma_f64 v[163:164], v[117:118], s[8:9], v[163:164]
	v_fma_f64 v[157:158], v[87:88], s[42:43], -v[165:166]
	v_fma_f64 v[159:160], v[87:88], s[42:43], v[165:166]
	v_fma_f64 v[165:166], v[87:88], s[34:35], v[91:92]
	v_fma_f64 v[87:88], v[87:88], s[34:35], -v[91:92]
	v_mul_f64 v[91:92], v[137:138], s[52:53]
	v_add_f64 v[74:75], v[153:154], v[74:75]
	v_mul_f64 v[185:186], v[133:134], s[44:45]
	v_add_f64 v[70:71], v[179:180], v[70:71]
	v_add_f64 v[181:182], v[24:25], v[181:182]
	v_fma_f64 v[187:188], v[85:86], s[20:21], -v[46:47]
	v_add_f64 v[24:25], v[99:100], v[145:146]
	v_mul_f64 v[99:100], v[141:142], s[6:7]
	v_add_f64 v[95:96], v[95:96], v[173:174]
	v_add_f64 v[26:27], v[36:37], v[26:27]
	v_fma_f64 v[36:37], v[85:86], s[22:23], -v[38:39]
	v_fma_f64 v[173:174], v[129:130], s[20:21], v[143:144]
	v_fma_f64 v[46:47], v[85:86], s[20:21], v[46:47]
	v_mul_f64 v[141:142], v[141:142], s[52:53]
	v_fma_f64 v[143:144], v[129:130], s[20:21], -v[143:144]
	v_fma_f64 v[38:39], v[85:86], s[22:23], v[38:39]
	v_add_f64 v[40:41], v[81:82], v[40:41]
	v_add_f64 v[72:73], v[161:162], v[72:73]
	;; [unrolled: 1-line block ×5, first 2 shown]
	v_fma_f64 v[165:166], v[129:130], s[22:23], v[93:94]
	v_mul_f64 v[183:184], v[131:132], s[52:53]
	v_mul_f64 v[131:132], v[131:132], s[6:7]
	v_fma_f64 v[93:94], v[129:130], s[22:23], -v[93:94]
	v_add_f64 v[42:43], v[87:88], v[42:43]
	v_mul_f64 v[129:130], v[139:140], s[30:31]
	v_add_f64 v[181:182], v[187:188], v[181:182]
	v_mul_f64 v[139:140], v[139:140], s[40:41]
	v_fma_f64 v[85:86], v[111:112], s[4:5], -v[99:100]
	v_fma_f64 v[99:100], v[111:112], s[4:5], v[99:100]
	v_mul_f64 v[175:176], v[123:124], s[52:53]
	v_add_f64 v[26:27], v[36:37], v[26:27]
	v_fma_f64 v[87:88], v[107:108], s[42:43], v[91:92]
	v_add_f64 v[46:47], v[46:47], v[95:96]
	v_fma_f64 v[95:96], v[111:112], s[42:43], -v[141:142]
	v_fma_f64 v[111:112], v[111:112], s[42:43], v[141:142]
	v_mul_f64 v[141:142], v[135:136], s[38:39]
	v_add_f64 v[38:39], v[38:39], v[40:41]
	v_mul_f64 v[135:136], v[135:136], s[24:25]
	v_add_f64 v[143:144], v[143:144], v[157:158]
	v_add_f64 v[159:160], v[173:174], v[159:160]
	v_mul_f64 v[173:174], v[127:128], s[30:31]
	v_add_f64 v[44:45], v[165:166], v[44:45]
	v_mul_f64 v[127:128], v[127:128], s[40:41]
	v_fma_f64 v[157:158], v[119:120], s[42:43], v[183:184]
	v_fma_f64 v[91:92], v[107:108], s[42:43], -v[91:92]
	v_add_f64 v[42:43], v[93:94], v[42:43]
	v_fma_f64 v[40:41], v[103:104], s[16:17], -v[129:130]
	v_fma_f64 v[129:130], v[103:104], s[16:17], v[129:130]
	v_mul_f64 v[81:82], v[133:134], s[18:19]
	v_add_f64 v[85:86], v[85:86], v[181:182]
	v_fma_f64 v[181:182], v[119:120], s[4:5], v[131:132]
	v_fma_f64 v[131:132], v[119:120], s[4:5], -v[131:132]
	v_fma_f64 v[119:120], v[119:120], s[42:43], -v[183:184]
	v_mul_f64 v[183:184], v[125:126], s[38:39]
	v_mul_f64 v[125:126], v[125:126], s[24:25]
	v_add_f64 v[26:27], v[95:96], v[26:27]
	v_fma_f64 v[95:96], v[103:104], s[28:29], -v[139:140]
	v_add_f64 v[46:47], v[99:100], v[46:47]
	v_fma_f64 v[103:104], v[103:104], s[28:29], v[139:140]
	v_add_f64 v[38:39], v[111:112], v[38:39]
	v_mul_f64 v[99:100], v[123:124], s[26:27]
	v_add_f64 v[18:19], v[22:23], v[18:19]
	v_fma_f64 v[93:94], v[115:116], s[16:17], v[173:174]
	v_add_f64 v[16:17], v[20:21], v[16:17]
	v_fma_f64 v[32:33], v[115:116], s[28:29], v[127:128]
	v_add_f64 v[34:35], v[157:158], v[44:45]
	v_fma_f64 v[111:112], v[115:116], s[28:29], -v[127:128]
	v_mul_f64 v[157:158], v[137:138], s[26:27]
	v_mul_f64 v[137:138], v[137:138], s[18:19]
	;; [unrolled: 1-line block ×3, first 2 shown]
	v_fma_f64 v[165:166], v[113:114], s[42:43], -v[175:176]
	v_add_f64 v[40:41], v[40:41], v[85:86]
	v_add_f64 v[44:45], v[181:182], v[159:160]
	v_fma_f64 v[159:160], v[115:116], s[16:17], -v[173:174]
	v_add_f64 v[131:132], v[131:132], v[143:144]
	v_add_f64 v[42:43], v[119:120], v[42:43]
	v_mul_f64 v[115:116], v[123:124], s[18:19]
	v_fma_f64 v[119:120], v[105:106], s[20:21], -v[135:136]
	v_add_f64 v[26:27], v[95:96], v[26:27]
	v_fma_f64 v[95:96], v[117:118], s[20:21], v[125:126]
	v_fma_f64 v[143:144], v[105:106], s[28:29], -v[141:142]
	v_fma_f64 v[85:86], v[117:118], s[28:29], v[183:184]
	v_add_f64 v[38:39], v[103:104], v[38:39]
	v_fma_f64 v[103:104], v[117:118], s[20:21], -v[125:126]
	v_fma_f64 v[175:176], v[113:114], s[42:43], v[175:176]
	v_add_f64 v[14:15], v[18:19], v[14:15]
	v_add_f64 v[18:19], v[16:17], v[12:13]
	;; [unrolled: 1-line block ×3, first 2 shown]
	v_fma_f64 v[34:35], v[105:106], s[28:29], v[141:142]
	v_fma_f64 v[105:106], v[105:106], s[20:21], v[135:136]
	v_mul_f64 v[32:33], v[133:134], s[14:15]
	v_fma_f64 v[127:128], v[107:108], s[22:23], -v[157:158]
	v_fma_f64 v[145:146], v[109:110], s[34:35], -v[177:178]
	v_fma_f64 v[161:162], v[101:102], s[34:35], -v[185:186]
	v_add_f64 v[30:31], v[93:94], v[44:45]
	v_add_f64 v[44:45], v[129:130], v[46:47]
	v_fma_f64 v[93:94], v[117:118], s[28:29], -v[183:184]
	v_add_f64 v[123:124], v[159:160], v[131:132]
	v_add_f64 v[42:43], v[111:112], v[42:43]
	v_mul_f64 v[131:132], v[133:134], s[6:7]
	v_mul_f64 v[111:112], v[121:122], s[6:7]
	v_fma_f64 v[117:118], v[107:108], s[16:17], -v[137:138]
	v_add_f64 v[26:27], v[119:120], v[26:27]
	v_fma_f64 v[119:120], v[113:114], s[16:17], v[115:116]
	v_mul_f64 v[46:47], v[121:122], s[14:15]
	v_add_f64 v[40:41], v[143:144], v[40:41]
	v_fma_f64 v[129:130], v[113:114], s[22:23], v[99:100]
	v_fma_f64 v[177:178], v[109:110], s[34:35], v[177:178]
	v_fma_f64 v[153:154], v[109:110], s[20:21], -v[83:84]
	v_add_f64 v[20:21], v[95:96], v[28:29]
	v_add_f64 v[28:29], v[163:164], v[72:73]
	;; [unrolled: 1-line block ×3, first 2 shown]
	v_fma_f64 v[95:96], v[107:108], s[16:17], v[137:138]
	v_add_f64 v[38:39], v[105:106], v[38:39]
	v_fma_f64 v[74:75], v[109:110], s[16:17], v[36:37]
	v_fma_f64 v[83:84], v[109:110], s[20:21], v[83:84]
	v_add_f64 v[22:23], v[85:86], v[30:31]
	v_fma_f64 v[85:86], v[107:108], s[22:23], v[157:158]
	v_add_f64 v[34:35], v[34:35], v[44:45]
	v_fma_f64 v[44:45], v[113:114], s[22:23], -v[99:100]
	v_add_f64 v[91:92], v[93:94], v[123:124]
	v_fma_f64 v[99:100], v[113:114], s[16:17], -v[115:116]
	;; [unrolled: 2-line block ×3, first 2 shown]
	v_fma_f64 v[105:106], v[101:102], s[4:5], -v[131:132]
	v_add_f64 v[26:27], v[117:118], v[26:27]
	v_fma_f64 v[107:108], v[109:110], s[4:5], v[111:112]
	v_fma_f64 v[93:94], v[101:102], s[8:9], -v[32:33]
	v_add_f64 v[40:41], v[127:128], v[40:41]
	v_fma_f64 v[103:104], v[109:110], s[8:9], v[46:47]
	v_fma_f64 v[97:98], v[101:102], s[34:35], v[185:186]
	v_add_f64 v[113:114], v[119:120], v[20:21]
	v_add_f64 v[115:116], v[175:176], v[28:29]
	v_fma_f64 v[81:82], v[101:102], s[16:17], v[81:82]
	v_add_f64 v[87:88], v[87:88], v[149:150]
	v_fma_f64 v[117:118], v[109:110], s[16:17], -v[36:37]
	v_add_f64 v[119:120], v[165:166], v[155:156]
	v_fma_f64 v[121:122], v[101:102], s[8:9], v[32:33]
	v_add_f64 v[22:23], v[129:130], v[22:23]
	v_fma_f64 v[46:47], v[109:110], s[8:9], -v[46:47]
	v_add_f64 v[85:86], v[85:86], v[34:35]
	v_fma_f64 v[101:102], v[101:102], s[4:5], v[131:132]
	v_add_f64 v[91:92], v[44:45], v[91:92]
	v_add_f64 v[95:96], v[95:96], v[38:39]
	v_fma_f64 v[109:110], v[109:110], s[4:5], -v[111:112]
	v_add_f64 v[99:100], v[99:100], v[42:43]
	v_add_f64 v[16:17], v[30:31], v[72:73]
	;; [unrolled: 1-line block ×12, first 2 shown]
	v_mul_u32_u24_e32 v8, 0x110, v80
	v_add_f64 v[40:41], v[97:98], v[167:168]
	v_add_f64 v[38:39], v[145:146], v[50:51]
	;; [unrolled: 1-line block ×10, first 2 shown]
	v_add3_u32 v8, 0, v8, v172
	ds_write_b128 v8, v[30:33]
	ds_write_b128 v8, v[26:29] offset:16
	ds_write_b128 v8, v[18:21] offset:32
	;; [unrolled: 1-line block ×16, first 2 shown]
.LBB0_22:
	s_or_b32 exec_lo, exec_lo, s33
	s_waitcnt lgkmcnt(0)
	s_barrier
	buffer_gl0_inv
	ds_read_b128 v[8:11], v170
	ds_read_b128 v[12:15], v171 offset:544
	ds_read_b128 v[28:31], v171 offset:2448
	;; [unrolled: 1-line block ×7, first 2 shown]
	s_and_saveexec_b32 s1, s0
	s_cbranch_execz .LBB0_24
; %bb.23:
	ds_read_b128 v[0:3], v171 offset:2176
	ds_read_b128 v[4:7], v171 offset:4624
.LBB0_24:
	s_or_b32 exec_lo, exec_lo, s1
	v_add_nc_u16 v45, v80, 34
	v_add_nc_u16 v46, v80, 0x44
	v_add_nc_u16 v47, v80, 0x66
	v_subrev_nc_u32_e32 v44, 17, v80
	v_and_b32_e32 v40, 0xff, v45
	v_and_b32_e32 v41, 0xff, v46
	;; [unrolled: 1-line block ×3, first 2 shown]
	v_mul_lo_u16 v40, 0xf1, v40
	v_mul_lo_u16 v43, 0xf1, v41
	;; [unrolled: 1-line block ×3, first 2 shown]
	v_mov_b32_e32 v41, 0
	v_lshrrev_b16 v67, 12, v40
	v_cndmask_b32_e64 v40, v44, v80, s0
	v_lshrrev_b16 v68, 12, v43
	v_lshrrev_b16 v69, 12, v42
	v_mov_b32_e32 v42, 4
	v_mul_lo_u16 v48, v67, 17
	v_lshlrev_b64 v[43:44], 4, v[40:41]
	v_mul_lo_u16 v49, v68, 17
	v_mul_lo_u16 v50, v69, 17
	v_lshlrev_b32_e32 v40, 4, v40
	v_sub_nc_u16 v45, v45, v48
	v_add_co_u32 v43, s1, s12, v43
	v_sub_nc_u16 v46, v46, v49
	v_add_co_ci_u32_e64 v44, s1, s13, v44, s1
	v_sub_nc_u16 v47, v47, v50
	v_lshlrev_b32_sdwa v70, v42, v45 dst_sel:DWORD dst_unused:UNUSED_PAD src0_sel:DWORD src1_sel:BYTE_0
	v_lshlrev_b32_sdwa v71, v42, v46 dst_sel:DWORD dst_unused:UNUSED_PAD src0_sel:DWORD src1_sel:BYTE_0
	global_load_dwordx4 v[43:46], v[43:44], off
	v_cmp_lt_u32_e64 s1, 16, v80
	v_lshlrev_b32_sdwa v72, v42, v47 dst_sel:DWORD dst_unused:UNUSED_PAD src0_sel:DWORD src1_sel:BYTE_0
	s_clause 0x2
	global_load_dwordx4 v[47:50], v70, s[12:13]
	global_load_dwordx4 v[51:54], v71, s[12:13]
	;; [unrolled: 1-line block ×3, first 2 shown]
	s_waitcnt vmcnt(0) lgkmcnt(0)
	s_barrier
	buffer_gl0_inv
	v_mul_f64 v[59:60], v[30:31], v[45:46]
	v_mul_f64 v[45:46], v[28:29], v[45:46]
	;; [unrolled: 1-line block ×8, first 2 shown]
	v_fma_f64 v[28:29], v[28:29], v[43:44], v[59:60]
	v_fma_f64 v[30:31], v[30:31], v[43:44], -v[45:46]
	v_fma_f64 v[43:44], v[24:25], v[47:48], v[61:62]
	v_fma_f64 v[45:46], v[26:27], v[47:48], -v[49:50]
	;; [unrolled: 2-line block ×4, first 2 shown]
	v_add_f64 v[24:25], v[8:9], -v[28:29]
	v_add_f64 v[26:27], v[10:11], -v[30:31]
	;; [unrolled: 1-line block ×8, first 2 shown]
	v_cndmask_b32_e64 v43, 0, 0x220, s1
	v_and_b32_e32 v44, 0xffff, v67
	v_and_b32_e32 v45, 0xffff, v68
	;; [unrolled: 1-line block ×3, first 2 shown]
	v_add_nc_u32_e32 v43, 0, v43
	v_add3_u32 v40, v43, v40, v172
	v_mad_u32_u24 v43, 0x220, v44, 0
	v_mad_u32_u24 v44, 0x220, v45, 0
	v_fma_f64 v[8:9], v[8:9], 2.0, -v[24:25]
	v_fma_f64 v[10:11], v[10:11], 2.0, -v[26:27]
	v_mad_u32_u24 v45, 0x220, v46, 0
	v_fma_f64 v[12:13], v[12:13], 2.0, -v[28:29]
	v_fma_f64 v[14:15], v[14:15], 2.0, -v[30:31]
	;; [unrolled: 1-line block ×6, first 2 shown]
	v_add3_u32 v43, v43, v70, v172
	v_add3_u32 v44, v44, v71, v172
	;; [unrolled: 1-line block ×3, first 2 shown]
	ds_write_b128 v40, v[24:27] offset:272
	ds_write_b128 v40, v[8:11]
	ds_write_b128 v43, v[28:31] offset:272
	ds_write_b128 v43, v[12:15]
	ds_write_b128 v44, v[16:19]
	ds_write_b128 v44, v[32:35] offset:272
	ds_write_b128 v45, v[20:23]
	ds_write_b128 v45, v[36:39] offset:272
	s_and_saveexec_b32 s1, s0
	s_cbranch_execz .LBB0_26
; %bb.25:
	v_add_nc_u16 v8, v80, 0x88
	v_and_b32_e32 v9, 0xff, v8
	v_mul_lo_u16 v9, 0xf1, v9
	v_lshrrev_b16 v9, 12, v9
	v_mul_lo_u16 v9, v9, 17
	v_sub_nc_u16 v8, v8, v9
	v_lshlrev_b32_sdwa v14, v42, v8 dst_sel:DWORD dst_unused:UNUSED_PAD src0_sel:DWORD src1_sel:BYTE_0
	global_load_dwordx4 v[8:11], v14, s[12:13]
	s_waitcnt vmcnt(0)
	v_mul_f64 v[12:13], v[4:5], v[10:11]
	v_mul_f64 v[10:11], v[6:7], v[10:11]
	v_fma_f64 v[6:7], v[6:7], v[8:9], -v[12:13]
	v_fma_f64 v[4:5], v[4:5], v[8:9], v[10:11]
	v_add3_u32 v8, 0, v14, v172
	v_add_f64 v[6:7], v[2:3], -v[6:7]
	v_add_f64 v[4:5], v[0:1], -v[4:5]
	v_fma_f64 v[2:3], v[2:3], 2.0, -v[6:7]
	v_fma_f64 v[0:1], v[0:1], 2.0, -v[4:5]
	ds_write_b128 v8, v[0:3] offset:4352
	ds_write_b128 v8, v[4:7] offset:4624
.LBB0_26:
	s_or_b32 exec_lo, exec_lo, s1
	v_lshlrev_b32_e32 v40, 3, v80
	s_waitcnt lgkmcnt(0)
	s_barrier
	buffer_gl0_inv
	s_mov_b32 s4, 0x8c811c17
	v_lshlrev_b64 v[0:1], 4, v[40:41]
	s_mov_b32 s6, 0xa2cf5039
	s_mov_b32 s1, 0x3fe491b7
	;; [unrolled: 1-line block ×5, first 2 shown]
	v_add_co_u32 v28, s0, s12, v0
	v_add_co_ci_u32_e64 v29, s0, s13, v1, s0
	s_mov_b32 s0, 0x523c161c
	s_mov_b32 s9, 0x3fc63a1a
	s_clause 0x7
	global_load_dwordx4 v[0:3], v[28:29], off offset:272
	global_load_dwordx4 v[4:7], v[28:29], off offset:384
	;; [unrolled: 1-line block ×8, first 2 shown]
	ds_read_b128 v[32:35], v171 offset:544
	ds_read_b128 v[36:39], v171 offset:4352
	;; [unrolled: 1-line block ×8, first 2 shown]
	s_waitcnt vmcnt(7) lgkmcnt(7)
	v_mul_f64 v[64:65], v[34:35], v[2:3]
	v_mul_f64 v[2:3], v[32:33], v[2:3]
	s_waitcnt vmcnt(6) lgkmcnt(6)
	v_mul_f64 v[66:67], v[38:39], v[6:7]
	v_mul_f64 v[6:7], v[36:37], v[6:7]
	;; [unrolled: 3-line block ×6, first 2 shown]
	v_fma_f64 v[32:33], v[32:33], v[0:1], v[64:65]
	v_fma_f64 v[34:35], v[34:35], v[0:1], -v[2:3]
	ds_read_b128 v[0:3], v170
	v_fma_f64 v[36:37], v[36:37], v[4:5], v[66:67]
	v_fma_f64 v[4:5], v[38:39], v[4:5], -v[6:7]
	v_fma_f64 v[6:7], v[40:41], v[8:9], v[68:69]
	v_fma_f64 v[8:9], v[42:43], v[8:9], -v[10:11]
	;; [unrolled: 2-line block ×5, first 2 shown]
	s_waitcnt vmcnt(1) lgkmcnt(2)
	v_mul_f64 v[22:23], v[58:59], v[26:27]
	v_mul_f64 v[26:27], v[56:57], v[26:27]
	s_waitcnt vmcnt(0) lgkmcnt(1)
	v_mul_f64 v[38:39], v[62:63], v[30:31]
	v_mul_f64 v[30:31], v[60:61], v[30:31]
	s_waitcnt lgkmcnt(0)
	s_barrier
	buffer_gl0_inv
	v_add_f64 v[40:41], v[32:33], -v[36:37]
	v_add_f64 v[42:43], v[34:35], -v[4:5]
	v_add_f64 v[32:33], v[32:33], v[36:37]
	v_add_f64 v[4:5], v[34:35], v[4:5]
	;; [unrolled: 1-line block ×4, first 2 shown]
	v_add_f64 v[44:45], v[6:7], -v[10:11]
	v_add_f64 v[46:47], v[8:9], -v[12:13]
	v_add_f64 v[48:49], v[14:15], v[18:19]
	v_add_f64 v[50:51], v[16:17], v[20:21]
	v_fma_f64 v[22:23], v[56:57], v[24:25], v[22:23]
	v_fma_f64 v[24:25], v[58:59], v[24:25], -v[26:27]
	v_fma_f64 v[26:27], v[60:61], v[28:29], v[38:39]
	v_fma_f64 v[28:29], v[62:63], v[28:29], -v[30:31]
	v_add_f64 v[14:15], v[14:15], -v[18:19]
	v_add_f64 v[16:17], v[16:17], -v[20:21]
	v_mul_f64 v[18:19], v[40:41], s[0:1]
	v_mul_f64 v[20:21], v[42:43], s[0:1]
	v_fma_f64 v[30:31], v[32:33], s[6:7], v[0:1]
	v_fma_f64 v[38:39], v[4:5], s[6:7], v[2:3]
	s_mov_b32 s1, 0xbfe491b7
	v_fma_f64 v[52:53], v[34:35], s[6:7], v[0:1]
	v_fma_f64 v[54:55], v[36:37], s[6:7], v[2:3]
	v_mul_f64 v[56:57], v[44:45], s[4:5]
	v_mul_f64 v[58:59], v[46:47], s[4:5]
	v_fma_f64 v[60:61], v[48:49], s[6:7], v[0:1]
	v_fma_f64 v[62:63], v[50:51], s[6:7], v[2:3]
	v_mul_f64 v[64:65], v[46:47], s[0:1]
	v_mul_f64 v[66:67], v[44:45], s[0:1]
	v_add_f64 v[68:69], v[22:23], v[26:27]
	v_add_f64 v[70:71], v[24:25], v[28:29]
	;; [unrolled: 1-line block ×4, first 2 shown]
	v_add_f64 v[22:23], v[22:23], -v[26:27]
	v_add_f64 v[24:25], v[24:25], -v[28:29]
	s_mov_b32 s6, 0xe8584cab
	s_mov_b32 s7, 0x3febb67a
	v_fma_f64 v[18:19], v[14:15], s[4:5], v[18:19]
	v_fma_f64 v[20:21], v[16:17], s[4:5], v[20:21]
	;; [unrolled: 1-line block ×6, first 2 shown]
	v_fma_f64 v[52:53], v[14:15], s[0:1], -v[56:57]
	v_fma_f64 v[54:55], v[16:17], s[0:1], -v[58:59]
	v_fma_f64 v[56:57], v[34:35], s[8:9], v[60:61]
	v_fma_f64 v[58:59], v[36:37], s[8:9], v[62:63]
	;; [unrolled: 1-line block ×4, first 2 shown]
	v_add_f64 v[64:65], v[44:45], v[40:41]
	v_add_f64 v[66:67], v[46:47], v[42:43]
	;; [unrolled: 1-line block ×8, first 2 shown]
	s_mov_b32 s1, 0xbfebb67a
	s_mov_b32 s0, s6
	v_fma_f64 v[18:19], v[22:23], s[6:7], v[18:19]
	v_fma_f64 v[20:21], v[24:25], s[6:7], v[20:21]
	v_fma_f64 v[26:27], v[68:69], -0.5, v[26:27]
	v_fma_f64 v[28:29], v[70:71], -0.5, v[28:29]
	;; [unrolled: 1-line block ×4, first 2 shown]
	v_fma_f64 v[52:53], v[22:23], s[6:7], v[52:53]
	v_fma_f64 v[54:55], v[24:25], s[6:7], v[54:55]
	v_fma_f64 v[56:57], v[68:69], -0.5, v[56:57]
	v_fma_f64 v[58:59], v[70:71], -0.5, v[58:59]
	v_fma_f64 v[24:25], v[24:25], s[0:1], v[60:61]
	v_fma_f64 v[22:23], v[22:23], s[0:1], v[62:63]
	s_mov_b32 s4, 0x748a0bf8
	s_mov_b32 s8, 0x42522d1b
	;; [unrolled: 1-line block ×4, first 2 shown]
	v_add_f64 v[6:7], v[6:7], v[72:73]
	v_add_f64 v[8:9], v[8:9], v[74:75]
	v_add_f64 v[60:61], v[64:65], -v[14:15]
	v_add_f64 v[62:63], v[66:67], -v[16:17]
	v_fma_f64 v[64:65], v[85:86], -0.5, v[81:82]
	v_fma_f64 v[66:67], v[87:88], -0.5, v[83:84]
	v_fma_f64 v[44:45], v[44:45], s[4:5], v[18:19]
	v_fma_f64 v[46:47], v[46:47], s[4:5], v[20:21]
	;; [unrolled: 1-line block ×12, first 2 shown]
	v_add_f64 v[42:43], v[10:11], v[6:7]
	v_add_f64 v[48:49], v[12:13], v[8:9]
	v_mul_f64 v[22:23], v[60:61], s[6:7]
	v_mul_f64 v[24:25], v[62:63], s[6:7]
	v_fma_f64 v[4:5], v[62:63], s[0:1], v[64:65]
	v_fma_f64 v[6:7], v[60:61], s[6:7], v[66:67]
	v_add_f64 v[8:9], v[18:19], -v[46:47]
	v_add_f64 v[10:11], v[44:45], v[20:21]
	v_add_f64 v[12:13], v[32:33], -v[34:35]
	v_add_f64 v[14:15], v[30:31], v[36:37]
	;; [unrolled: 2-line block ×3, first 2 shown]
	v_add_f64 v[0:1], v[0:1], v[42:43]
	v_add_f64 v[2:3], v[2:3], v[48:49]
	v_fma_f64 v[20:21], v[24:25], 2.0, v[4:5]
	v_fma_f64 v[22:23], v[22:23], -2.0, v[6:7]
	v_fma_f64 v[24:25], v[46:47], 2.0, v[8:9]
	v_fma_f64 v[26:27], v[44:45], -2.0, v[10:11]
	;; [unrolled: 2-line block ×4, first 2 shown]
	ds_write_b128 v171, v[4:7] offset:1632
	ds_write_b128 v171, v[0:3]
	ds_write_b128 v171, v[8:11] offset:544
	ds_write_b128 v171, v[12:15] offset:2176
	;; [unrolled: 1-line block ×7, first 2 shown]
	s_waitcnt lgkmcnt(0)
	s_barrier
	buffer_gl0_inv
	s_and_saveexec_b32 s0, vcc_lo
	s_cbranch_execz .LBB0_28
; %bb.27:
	v_mul_lo_u32 v2, s3, v78
	v_mul_lo_u32 v3, s2, v79
	v_mad_u64_u32 v[0:1], null, s2, v78, 0
	v_mov_b32_e32 v81, 0
	v_lshlrev_b64 v[8:9], 4, v[76:77]
	v_lshl_add_u32 v28, v80, 4, v169
	v_add_nc_u32_e32 v10, 34, v80
	v_add_nc_u32_e32 v12, 0x44, v80
	v_lshlrev_b64 v[14:15], 4, v[80:81]
	v_add3_u32 v1, v1, v3, v2
	v_mov_b32_e32 v11, v81
	v_mov_b32_e32 v13, v81
	v_add_nc_u32_e32 v22, 0x66, v80
	v_mov_b32_e32 v23, v81
	v_lshlrev_b64 v[16:17], 4, v[0:1]
	ds_read_b128 v[0:3], v28
	ds_read_b128 v[4:7], v28 offset:544
	v_add_nc_u32_e32 v24, 0x88, v80
	v_mov_b32_e32 v25, v81
	v_lshlrev_b64 v[22:23], 4, v[22:23]
	v_add_co_u32 v18, vcc_lo, s10, v16
	v_add_co_ci_u32_e32 v19, vcc_lo, s11, v17, vcc_lo
	v_lshlrev_b64 v[16:17], 4, v[10:11]
	v_add_co_u32 v30, vcc_lo, v18, v8
	v_add_co_ci_u32_e32 v31, vcc_lo, v19, v9, vcc_lo
	;; [unrolled: 3-line block ×3, first 2 shown]
	ds_read_b128 v[8:11], v28 offset:1088
	ds_read_b128 v[12:15], v28 offset:1632
	v_add_co_u32 v16, vcc_lo, v30, v16
	v_add_co_ci_u32_e32 v17, vcc_lo, v31, v17, vcc_lo
	v_add_co_u32 v18, vcc_lo, v30, v18
	v_add_co_ci_u32_e32 v19, vcc_lo, v31, v19, vcc_lo
	v_add_co_u32 v22, vcc_lo, v30, v22
	s_waitcnt lgkmcnt(3)
	global_store_dwordx4 v[20:21], v[0:3], off
	s_waitcnt lgkmcnt(2)
	global_store_dwordx4 v[16:17], v[4:7], off
	v_add_nc_u32_e32 v2, 0xaa, v80
	v_mov_b32_e32 v3, v81
	v_add_co_ci_u32_e32 v23, vcc_lo, v31, v23, vcc_lo
	v_lshlrev_b64 v[0:1], 4, v[24:25]
	s_waitcnt lgkmcnt(1)
	global_store_dwordx4 v[18:19], v[8:11], off
	s_waitcnt lgkmcnt(0)
	global_store_dwordx4 v[22:23], v[12:15], off
	v_lshlrev_b64 v[8:9], 4, v[2:3]
	v_add_co_u32 v20, vcc_lo, v30, v0
	v_add_nc_u32_e32 v10, 0xcc, v80
	v_mov_b32_e32 v11, v81
	v_add_co_ci_u32_e32 v21, vcc_lo, v31, v1, vcc_lo
	v_add_co_u32 v22, vcc_lo, v30, v8
	ds_read_b128 v[0:3], v28 offset:2176
	ds_read_b128 v[4:7], v28 offset:2720
	v_add_co_ci_u32_e32 v23, vcc_lo, v31, v9, vcc_lo
	v_lshlrev_b64 v[26:27], 4, v[10:11]
	ds_read_b128 v[8:11], v28 offset:3264
	ds_read_b128 v[12:15], v28 offset:3808
	;; [unrolled: 1-line block ×3, first 2 shown]
	v_add_nc_u32_e32 v24, 0xee, v80
	v_add_nc_u32_e32 v80, 0x110, v80
	v_add_co_u32 v26, vcc_lo, v30, v26
	v_lshlrev_b64 v[24:25], 4, v[24:25]
	v_lshlrev_b64 v[28:29], 4, v[80:81]
	v_add_co_ci_u32_e32 v27, vcc_lo, v31, v27, vcc_lo
	v_add_co_u32 v24, vcc_lo, v30, v24
	v_add_co_ci_u32_e32 v25, vcc_lo, v31, v25, vcc_lo
	v_add_co_u32 v28, vcc_lo, v30, v28
	v_add_co_ci_u32_e32 v29, vcc_lo, v31, v29, vcc_lo
	s_waitcnt lgkmcnt(4)
	global_store_dwordx4 v[20:21], v[0:3], off
	s_waitcnt lgkmcnt(3)
	global_store_dwordx4 v[22:23], v[4:7], off
	;; [unrolled: 2-line block ×5, first 2 shown]
.LBB0_28:
	s_endpgm
	.section	.rodata,"a",@progbits
	.p2align	6, 0x0
	.amdhsa_kernel fft_rtc_back_len306_factors_17_2_9_wgs_238_tpt_34_halfLds_dp_op_CI_CI_unitstride_sbrr_C2R_dirReg
		.amdhsa_group_segment_fixed_size 0
		.amdhsa_private_segment_fixed_size 0
		.amdhsa_kernarg_size 104
		.amdhsa_user_sgpr_count 6
		.amdhsa_user_sgpr_private_segment_buffer 1
		.amdhsa_user_sgpr_dispatch_ptr 0
		.amdhsa_user_sgpr_queue_ptr 0
		.amdhsa_user_sgpr_kernarg_segment_ptr 1
		.amdhsa_user_sgpr_dispatch_id 0
		.amdhsa_user_sgpr_flat_scratch_init 0
		.amdhsa_user_sgpr_private_segment_size 0
		.amdhsa_wavefront_size32 1
		.amdhsa_uses_dynamic_stack 0
		.amdhsa_system_sgpr_private_segment_wavefront_offset 0
		.amdhsa_system_sgpr_workgroup_id_x 1
		.amdhsa_system_sgpr_workgroup_id_y 0
		.amdhsa_system_sgpr_workgroup_id_z 0
		.amdhsa_system_sgpr_workgroup_info 0
		.amdhsa_system_vgpr_workitem_id 0
		.amdhsa_next_free_vgpr 197
		.amdhsa_next_free_sgpr 58
		.amdhsa_reserve_vcc 1
		.amdhsa_reserve_flat_scratch 0
		.amdhsa_float_round_mode_32 0
		.amdhsa_float_round_mode_16_64 0
		.amdhsa_float_denorm_mode_32 3
		.amdhsa_float_denorm_mode_16_64 3
		.amdhsa_dx10_clamp 1
		.amdhsa_ieee_mode 1
		.amdhsa_fp16_overflow 0
		.amdhsa_workgroup_processor_mode 1
		.amdhsa_memory_ordered 1
		.amdhsa_forward_progress 0
		.amdhsa_shared_vgpr_count 0
		.amdhsa_exception_fp_ieee_invalid_op 0
		.amdhsa_exception_fp_denorm_src 0
		.amdhsa_exception_fp_ieee_div_zero 0
		.amdhsa_exception_fp_ieee_overflow 0
		.amdhsa_exception_fp_ieee_underflow 0
		.amdhsa_exception_fp_ieee_inexact 0
		.amdhsa_exception_int_div_zero 0
	.end_amdhsa_kernel
	.text
.Lfunc_end0:
	.size	fft_rtc_back_len306_factors_17_2_9_wgs_238_tpt_34_halfLds_dp_op_CI_CI_unitstride_sbrr_C2R_dirReg, .Lfunc_end0-fft_rtc_back_len306_factors_17_2_9_wgs_238_tpt_34_halfLds_dp_op_CI_CI_unitstride_sbrr_C2R_dirReg
                                        ; -- End function
	.section	.AMDGPU.csdata,"",@progbits
; Kernel info:
; codeLenInByte = 12100
; NumSgprs: 60
; NumVgprs: 197
; ScratchSize: 0
; MemoryBound: 0
; FloatMode: 240
; IeeeMode: 1
; LDSByteSize: 0 bytes/workgroup (compile time only)
; SGPRBlocks: 7
; VGPRBlocks: 24
; NumSGPRsForWavesPerEU: 60
; NumVGPRsForWavesPerEU: 197
; Occupancy: 4
; WaveLimiterHint : 1
; COMPUTE_PGM_RSRC2:SCRATCH_EN: 0
; COMPUTE_PGM_RSRC2:USER_SGPR: 6
; COMPUTE_PGM_RSRC2:TRAP_HANDLER: 0
; COMPUTE_PGM_RSRC2:TGID_X_EN: 1
; COMPUTE_PGM_RSRC2:TGID_Y_EN: 0
; COMPUTE_PGM_RSRC2:TGID_Z_EN: 0
; COMPUTE_PGM_RSRC2:TIDIG_COMP_CNT: 0
	.text
	.p2alignl 6, 3214868480
	.fill 48, 4, 3214868480
	.type	__hip_cuid_3ffe5fc05e06b7e8,@object ; @__hip_cuid_3ffe5fc05e06b7e8
	.section	.bss,"aw",@nobits
	.globl	__hip_cuid_3ffe5fc05e06b7e8
__hip_cuid_3ffe5fc05e06b7e8:
	.byte	0                               ; 0x0
	.size	__hip_cuid_3ffe5fc05e06b7e8, 1

	.ident	"AMD clang version 19.0.0git (https://github.com/RadeonOpenCompute/llvm-project roc-6.4.0 25133 c7fe45cf4b819c5991fe208aaa96edf142730f1d)"
	.section	".note.GNU-stack","",@progbits
	.addrsig
	.addrsig_sym __hip_cuid_3ffe5fc05e06b7e8
	.amdgpu_metadata
---
amdhsa.kernels:
  - .args:
      - .actual_access:  read_only
        .address_space:  global
        .offset:         0
        .size:           8
        .value_kind:     global_buffer
      - .offset:         8
        .size:           8
        .value_kind:     by_value
      - .actual_access:  read_only
        .address_space:  global
        .offset:         16
        .size:           8
        .value_kind:     global_buffer
      - .actual_access:  read_only
        .address_space:  global
        .offset:         24
        .size:           8
        .value_kind:     global_buffer
      - .actual_access:  read_only
        .address_space:  global
        .offset:         32
        .size:           8
        .value_kind:     global_buffer
      - .offset:         40
        .size:           8
        .value_kind:     by_value
      - .actual_access:  read_only
        .address_space:  global
        .offset:         48
        .size:           8
        .value_kind:     global_buffer
      - .actual_access:  read_only
        .address_space:  global
        .offset:         56
        .size:           8
        .value_kind:     global_buffer
      - .offset:         64
        .size:           4
        .value_kind:     by_value
      - .actual_access:  read_only
        .address_space:  global
        .offset:         72
        .size:           8
        .value_kind:     global_buffer
      - .actual_access:  read_only
        .address_space:  global
        .offset:         80
        .size:           8
        .value_kind:     global_buffer
      - .actual_access:  read_only
        .address_space:  global
        .offset:         88
        .size:           8
        .value_kind:     global_buffer
      - .actual_access:  write_only
        .address_space:  global
        .offset:         96
        .size:           8
        .value_kind:     global_buffer
    .group_segment_fixed_size: 0
    .kernarg_segment_align: 8
    .kernarg_segment_size: 104
    .language:       OpenCL C
    .language_version:
      - 2
      - 0
    .max_flat_workgroup_size: 238
    .name:           fft_rtc_back_len306_factors_17_2_9_wgs_238_tpt_34_halfLds_dp_op_CI_CI_unitstride_sbrr_C2R_dirReg
    .private_segment_fixed_size: 0
    .sgpr_count:     60
    .sgpr_spill_count: 0
    .symbol:         fft_rtc_back_len306_factors_17_2_9_wgs_238_tpt_34_halfLds_dp_op_CI_CI_unitstride_sbrr_C2R_dirReg.kd
    .uniform_work_group_size: 1
    .uses_dynamic_stack: false
    .vgpr_count:     197
    .vgpr_spill_count: 0
    .wavefront_size: 32
    .workgroup_processor_mode: 1
amdhsa.target:   amdgcn-amd-amdhsa--gfx1030
amdhsa.version:
  - 1
  - 2
...

	.end_amdgpu_metadata
